;; amdgpu-corpus repo=ROCm/rocFFT kind=compiled arch=gfx1030 opt=O3
	.text
	.amdgcn_target "amdgcn-amd-amdhsa--gfx1030"
	.amdhsa_code_object_version 6
	.protected	bluestein_single_back_len800_dim1_half_op_CI_CI ; -- Begin function bluestein_single_back_len800_dim1_half_op_CI_CI
	.globl	bluestein_single_back_len800_dim1_half_op_CI_CI
	.p2align	8
	.type	bluestein_single_back_len800_dim1_half_op_CI_CI,@function
bluestein_single_back_len800_dim1_half_op_CI_CI: ; @bluestein_single_back_len800_dim1_half_op_CI_CI
; %bb.0:
	s_load_dwordx4 s[0:3], s[4:5], 0x28
	v_mul_u32_u24_e32 v1, 0x19a, v0
	v_mov_b32_e32 v17, 0
	v_lshrrev_b32_e32 v1, 16, v1
	v_add_nc_u32_e32 v16, s6, v1
	s_waitcnt lgkmcnt(0)
	v_cmp_gt_u64_e32 vcc_lo, s[0:1], v[16:17]
	s_and_saveexec_b32 s0, vcc_lo
	s_cbranch_execz .LBB0_23
; %bb.1:
	s_clause 0x1
	s_load_dwordx2 s[18:19], s[4:5], 0x0
	s_load_dwordx2 s[12:13], s[4:5], 0x38
	v_mul_lo_u16 v1, 0xa0, v1
	v_sub_nc_u16 v0, v0, v1
	v_and_b32_e32 v32, 0xffff, v0
	v_cmp_gt_u16_e32 vcc_lo, 50, v0
	v_lshlrev_b32_e32 v31, 2, v32
	s_and_saveexec_b32 s1, vcc_lo
	s_cbranch_execz .LBB0_3
; %bb.2:
	s_load_dwordx2 s[6:7], s[4:5], 0x18
	v_add_nc_u32_e32 v40, 0x600, v31
	s_waitcnt lgkmcnt(0)
	s_load_dwordx4 s[8:11], s[6:7], 0x0
	s_clause 0x2
	global_load_dword v7, v31, s[18:19]
	global_load_dword v8, v31, s[18:19] offset:200
	global_load_dword v9, v31, s[18:19] offset:400
	s_waitcnt lgkmcnt(0)
	v_mad_u64_u32 v[0:1], null, s10, v16, 0
	v_mad_u64_u32 v[2:3], null, s8, v32, 0
	s_mul_i32 s6, s9, 0xc8
	s_mul_hi_u32 s7, s8, 0xc8
	v_mad_u64_u32 v[4:5], null, s11, v16, v[1:2]
	v_mad_u64_u32 v[5:6], null, s9, v32, v[3:4]
	v_mov_b32_e32 v1, v4
	v_add_co_u32 v4, s0, s18, v31
	v_add_co_ci_u32_e64 v6, null, s19, 0, s0
	v_lshlrev_b64 v[0:1], 2, v[0:1]
	v_mov_b32_e32 v3, v5
	v_add_co_u32 v0, s0, s2, v0
	v_lshlrev_b64 v[2:3], 2, v[2:3]
	v_add_co_ci_u32_e64 v1, s0, s3, v1, s0
	s_mul_i32 s2, s8, 0xc8
	s_add_i32 s3, s7, s6
	v_add_co_u32 v0, s0, v0, v2
	v_add_co_ci_u32_e64 v1, s0, v1, v3, s0
	v_add_co_u32 v2, s0, v0, s2
	v_add_co_ci_u32_e64 v3, s0, s3, v1, s0
	s_clause 0x1
	global_load_dword v10, v[0:1], off
	global_load_dword v11, v[2:3], off
	v_add_co_u32 v0, s0, v2, s2
	v_add_co_ci_u32_e64 v1, s0, s3, v3, s0
	v_add_co_u32 v2, s0, v0, s2
	v_add_co_ci_u32_e64 v3, s0, s3, v1, s0
	s_clause 0x1
	global_load_dword v12, v[0:1], off
	global_load_dword v13, v[2:3], off
	v_add_co_u32 v0, s0, v2, s2
	v_add_co_ci_u32_e64 v1, s0, s3, v3, s0
	v_add_co_u32 v2, s0, v0, s2
	v_add_co_ci_u32_e64 v3, s0, s3, v1, s0
	s_clause 0x4
	global_load_dword v14, v31, s[18:19] offset:600
	global_load_dword v15, v31, s[18:19] offset:800
	;; [unrolled: 1-line block ×5, first 2 shown]
	global_load_dword v20, v[0:1], off
	global_load_dword v21, v[2:3], off
	v_add_co_u32 v0, s0, v2, s2
	v_add_co_ci_u32_e64 v1, s0, s3, v3, s0
	s_clause 0x2
	global_load_dword v22, v31, s[18:19] offset:1600
	global_load_dword v23, v31, s[18:19] offset:1800
	;; [unrolled: 1-line block ×3, first 2 shown]
	v_add_co_u32 v2, s0, v0, s2
	v_add_co_ci_u32_e64 v3, s0, s3, v1, s0
	global_load_dword v25, v[0:1], off
	v_add_co_u32 v0, s0, v2, s2
	v_add_co_ci_u32_e64 v1, s0, s3, v3, s0
	global_load_dword v26, v[2:3], off
	v_add_co_u32 v2, s0, v0, s2
	v_add_co_ci_u32_e64 v3, s0, s3, v1, s0
	v_add_co_u32 v4, s0, 0x800, v4
	v_add_co_ci_u32_e64 v5, s0, 0, v6, s0
	global_load_dword v6, v[0:1], off
	global_load_dword v27, v[2:3], off
	v_add_co_u32 v0, s0, v2, s2
	v_add_co_ci_u32_e64 v1, s0, s3, v3, s0
	s_clause 0x1
	global_load_dword v28, v[4:5], off offset:152
	global_load_dword v29, v[4:5], off offset:352
	v_add_co_u32 v2, s0, v0, s2
	v_add_co_ci_u32_e64 v3, s0, s3, v1, s0
	global_load_dword v30, v[0:1], off
	v_add_co_u32 v0, s0, v2, s2
	v_add_co_ci_u32_e64 v1, s0, s3, v3, s0
	global_load_dword v33, v[2:3], off
	;; [unrolled: 3-line block ×4, first 2 shown]
	v_add_co_u32 v2, s0, v0, s2
	v_add_co_ci_u32_e64 v3, s0, s3, v1, s0
	global_load_dword v36, v[4:5], off offset:552
	global_load_dword v0, v[0:1], off
	global_load_dword v1, v[2:3], off
	s_clause 0x1
	global_load_dword v2, v[4:5], off offset:752
	global_load_dword v3, v[4:5], off offset:952
	v_add_nc_u32_e32 v5, 0x400, v31
	s_waitcnt vmcnt(28)
	v_lshrrev_b32_e32 v4, 16, v10
	v_mul_f16_sdwa v37, v7, v10 dst_sel:DWORD dst_unused:UNUSED_PAD src0_sel:WORD_1 src1_sel:DWORD
	s_waitcnt vmcnt(27)
	v_lshrrev_b32_e32 v39, 16, v11
	v_mul_f16_sdwa v41, v8, v11 dst_sel:DWORD dst_unused:UNUSED_PAD src0_sel:WORD_1 src1_sel:DWORD
	v_mul_f16_sdwa v38, v7, v4 dst_sel:DWORD dst_unused:UNUSED_PAD src0_sel:WORD_1 src1_sel:DWORD
	v_fma_f16 v4, v7, v4, -v37
	v_fma_f16 v37, v8, v39, -v41
	v_fmac_f16_e32 v38, v7, v10
	v_mul_f16_sdwa v7, v8, v39 dst_sel:DWORD dst_unused:UNUSED_PAD src0_sel:WORD_1 src1_sel:DWORD
	s_waitcnt vmcnt(26)
	v_lshrrev_b32_e32 v10, 16, v12
	v_mul_f16_sdwa v39, v9, v12 dst_sel:DWORD dst_unused:UNUSED_PAD src0_sel:WORD_1 src1_sel:DWORD
	v_pack_b32_f16 v4, v38, v4
	v_fmac_f16_e32 v7, v8, v11
	s_waitcnt vmcnt(25)
	v_lshrrev_b32_e32 v11, 16, v13
	v_mul_f16_sdwa v8, v9, v10 dst_sel:DWORD dst_unused:UNUSED_PAD src0_sel:WORD_1 src1_sel:DWORD
	v_fma_f16 v10, v9, v10, -v39
	s_waitcnt vmcnt(24)
	v_mul_f16_sdwa v38, v14, v13 dst_sel:DWORD dst_unused:UNUSED_PAD src0_sel:WORD_1 src1_sel:DWORD
	v_pack_b32_f16 v7, v7, v37
	v_fmac_f16_e32 v8, v9, v12
	v_mul_f16_sdwa v9, v14, v11 dst_sel:DWORD dst_unused:UNUSED_PAD src0_sel:WORD_1 src1_sel:DWORD
	s_waitcnt vmcnt(19)
	v_lshrrev_b32_e32 v12, 16, v20
	v_fma_f16 v11, v14, v11, -v38
	v_mul_f16_sdwa v37, v15, v20 dst_sel:DWORD dst_unused:UNUSED_PAD src0_sel:WORD_1 src1_sel:DWORD
	ds_write2_b32 v31, v4, v7 offset1:50
	v_pack_b32_f16 v4, v8, v10
	v_fmac_f16_e32 v9, v14, v13
	v_mul_f16_sdwa v7, v15, v12 dst_sel:DWORD dst_unused:UNUSED_PAD src0_sel:WORD_1 src1_sel:DWORD
	s_waitcnt vmcnt(18)
	v_lshrrev_b32_e32 v8, 16, v21
	v_mul_f16_sdwa v10, v17, v21 dst_sel:DWORD dst_unused:UNUSED_PAD src0_sel:WORD_1 src1_sel:DWORD
	v_fma_f16 v12, v15, v12, -v37
	v_pack_b32_f16 v9, v9, v11
	v_fmac_f16_e32 v7, v15, v20
	v_mul_f16_sdwa v11, v17, v8 dst_sel:DWORD dst_unused:UNUSED_PAD src0_sel:WORD_1 src1_sel:DWORD
	v_fma_f16 v8, v17, v8, -v10
	s_waitcnt vmcnt(14)
	v_lshrrev_b32_e32 v10, 16, v25
	v_mul_f16_sdwa v13, v18, v25 dst_sel:DWORD dst_unused:UNUSED_PAD src0_sel:WORD_1 src1_sel:DWORD
	ds_write2_b32 v31, v4, v9 offset0:100 offset1:150
	v_pack_b32_f16 v4, v7, v12
	v_fmac_f16_e32 v11, v17, v21
	v_mul_f16_sdwa v7, v18, v10 dst_sel:DWORD dst_unused:UNUSED_PAD src0_sel:WORD_1 src1_sel:DWORD
	s_waitcnt vmcnt(13)
	v_lshrrev_b32_e32 v9, 16, v26
	v_mul_f16_sdwa v12, v19, v26 dst_sel:DWORD dst_unused:UNUSED_PAD src0_sel:WORD_1 src1_sel:DWORD
	v_fma_f16 v10, v18, v10, -v13
	v_pack_b32_f16 v8, v11, v8
	v_fmac_f16_e32 v7, v18, v25
	v_mul_f16_sdwa v11, v19, v9 dst_sel:DWORD dst_unused:UNUSED_PAD src0_sel:WORD_1 src1_sel:DWORD
	v_fma_f16 v9, v19, v9, -v12
	s_waitcnt vmcnt(12)
	v_lshrrev_b32_e32 v12, 16, v6
	v_mul_f16_sdwa v13, v22, v6 dst_sel:DWORD dst_unused:UNUSED_PAD src0_sel:WORD_1 src1_sel:DWORD
	ds_write2_b32 v31, v4, v8 offset0:200 offset1:250
	v_pack_b32_f16 v4, v7, v10
	s_waitcnt vmcnt(11)
	v_lshrrev_b32_e32 v8, 16, v27
	v_mul_f16_sdwa v7, v22, v12 dst_sel:DWORD dst_unused:UNUSED_PAD src0_sel:WORD_1 src1_sel:DWORD
	v_fmac_f16_e32 v11, v19, v26
	v_fma_f16 v10, v22, v12, -v13
	v_mul_f16_sdwa v12, v23, v27 dst_sel:DWORD dst_unused:UNUSED_PAD src0_sel:WORD_1 src1_sel:DWORD
	v_fmac_f16_e32 v7, v22, v6
	v_mul_f16_sdwa v6, v23, v8 dst_sel:DWORD dst_unused:UNUSED_PAD src0_sel:WORD_1 src1_sel:DWORD
	v_pack_b32_f16 v9, v11, v9
	s_waitcnt vmcnt(8)
	v_lshrrev_b32_e32 v11, 16, v30
	v_fma_f16 v8, v23, v8, -v12
	v_mul_f16_sdwa v12, v24, v30 dst_sel:DWORD dst_unused:UNUSED_PAD src0_sel:WORD_1 src1_sel:DWORD
	v_fmac_f16_e32 v6, v23, v27
	s_waitcnt vmcnt(7)
	v_lshrrev_b32_e32 v13, 16, v33
	v_pack_b32_f16 v7, v7, v10
	v_mul_f16_sdwa v10, v24, v11 dst_sel:DWORD dst_unused:UNUSED_PAD src0_sel:WORD_1 src1_sel:DWORD
	v_fma_f16 v11, v24, v11, -v12
	v_mul_f16_sdwa v12, v28, v33 dst_sel:DWORD dst_unused:UNUSED_PAD src0_sel:WORD_1 src1_sel:DWORD
	v_pack_b32_f16 v6, v6, v8
	v_mul_f16_sdwa v8, v28, v13 dst_sel:DWORD dst_unused:UNUSED_PAD src0_sel:WORD_1 src1_sel:DWORD
	v_fmac_f16_e32 v10, v24, v30
	s_waitcnt vmcnt(6)
	v_lshrrev_b32_e32 v14, 16, v34
	v_mul_f16_sdwa v15, v29, v34 dst_sel:DWORD dst_unused:UNUSED_PAD src0_sel:WORD_1 src1_sel:DWORD
	v_fma_f16 v12, v28, v13, -v12
	v_fmac_f16_e32 v8, v28, v33
	v_pack_b32_f16 v10, v10, v11
	v_mul_f16_sdwa v11, v29, v14 dst_sel:DWORD dst_unused:UNUSED_PAD src0_sel:WORD_1 src1_sel:DWORD
	v_fma_f16 v13, v29, v14, -v15
	s_waitcnt vmcnt(5)
	v_lshrrev_b32_e32 v14, 16, v35
	s_waitcnt vmcnt(4)
	v_mul_f16_sdwa v15, v36, v35 dst_sel:DWORD dst_unused:UNUSED_PAD src0_sel:WORD_1 src1_sel:DWORD
	v_pack_b32_f16 v8, v8, v12
	s_waitcnt vmcnt(3)
	v_lshrrev_b32_e32 v12, 16, v0
	s_waitcnt vmcnt(2)
	v_lshrrev_b32_e32 v17, 16, v1
	v_mul_f16_sdwa v18, v36, v14 dst_sel:DWORD dst_unused:UNUSED_PAD src0_sel:WORD_1 src1_sel:DWORD
	v_fma_f16 v14, v36, v14, -v15
	s_waitcnt vmcnt(1)
	v_mul_f16_sdwa v15, v2, v0 dst_sel:DWORD dst_unused:UNUSED_PAD src0_sel:WORD_1 src1_sel:DWORD
	v_mul_f16_sdwa v19, v2, v12 dst_sel:DWORD dst_unused:UNUSED_PAD src0_sel:WORD_1 src1_sel:DWORD
	s_waitcnt vmcnt(0)
	v_mul_f16_sdwa v20, v3, v17 dst_sel:DWORD dst_unused:UNUSED_PAD src0_sel:WORD_1 src1_sel:DWORD
	v_mul_f16_sdwa v21, v3, v1 dst_sel:DWORD dst_unused:UNUSED_PAD src0_sel:WORD_1 src1_sel:DWORD
	v_fmac_f16_e32 v11, v29, v34
	v_fmac_f16_e32 v18, v36, v35
	v_fma_f16 v12, v2, v12, -v15
	v_fmac_f16_e32 v19, v2, v0
	v_fmac_f16_e32 v20, v3, v1
	v_fma_f16 v0, v3, v17, -v21
	v_pack_b32_f16 v1, v11, v13
	v_pack_b32_f16 v2, v18, v14
	v_add_nc_u32_e32 v3, 0x800, v31
	v_pack_b32_f16 v11, v19, v12
	v_pack_b32_f16 v0, v20, v0
	ds_write2_b32 v5, v4, v9 offset0:44 offset1:94
	ds_write2_b32 v5, v7, v6 offset0:144 offset1:194
	;; [unrolled: 1-line block ×5, first 2 shown]
.LBB0_3:
	s_or_b32 exec_lo, exec_lo, s1
	s_clause 0x1
	s_load_dwordx2 s[0:1], s[4:5], 0x20
	s_load_dwordx2 s[2:3], s[4:5], 0x8
	s_waitcnt lgkmcnt(0)
	s_barrier
	buffer_gl0_inv
                                        ; implicit-def: $vgpr0
                                        ; implicit-def: $vgpr12
                                        ; implicit-def: $vgpr4
                                        ; implicit-def: $vgpr14
                                        ; implicit-def: $vgpr2
                                        ; implicit-def: $vgpr10
                                        ; implicit-def: $vgpr6
                                        ; implicit-def: $vgpr8
	s_and_saveexec_b32 s4, vcc_lo
	s_cbranch_execz .LBB0_5
; %bb.4:
	v_add_nc_u32_e32 v8, 0x400, v31
	v_add_nc_u32_e32 v9, 0x600, v31
	;; [unrolled: 1-line block ×3, first 2 shown]
	ds_read2_b32 v[0:1], v31 offset1:50
	ds_read2_b32 v[2:3], v31 offset0:100 offset1:150
	ds_read2_b32 v[4:5], v31 offset0:200 offset1:250
	;; [unrolled: 1-line block ×7, first 2 shown]
.LBB0_5:
	s_or_b32 exec_lo, exec_lo, s4
	s_waitcnt lgkmcnt(3)
	v_pk_add_f16 v12, v0, v12 neg_lo:[0,1] neg_hi:[0,1]
	s_waitcnt lgkmcnt(2)
	v_pk_add_f16 v10, v2, v10 neg_lo:[0,1] neg_hi:[0,1]
	;; [unrolled: 2-line block ×4, first 2 shown]
	v_pk_add_f16 v13, v1, v13 neg_lo:[0,1] neg_hi:[0,1]
	v_lshrrev_b32_e32 v8, 16, v12
	v_lshrrev_b32_e32 v18, 16, v10
	v_sub_f16_sdwa v19, v12, v14 dst_sel:DWORD dst_unused:UNUSED_PAD src0_sel:DWORD src1_sel:WORD_1
	v_sub_f16_sdwa v22, v10, v17 dst_sel:DWORD dst_unused:UNUSED_PAD src0_sel:DWORD src1_sel:WORD_1
	v_pk_add_f16 v15, v5, v15 neg_lo:[0,1] neg_hi:[0,1]
	v_add_f16_e32 v21, v14, v8
	v_add_f16_e32 v23, v17, v18
	v_pk_add_f16 v11, v3, v11 neg_lo:[0,1] neg_hi:[0,1]
	v_pk_add_f16 v20, v7, v9 neg_lo:[0,1] neg_hi:[0,1]
	v_fma_f16 v9, v12, 2.0, -v19
	v_lshrrev_b32_e32 v24, 16, v13
	v_fma_f16 v25, v8, 2.0, -v21
	v_fma_f16 v8, v10, 2.0, -v22
	v_fma_f16 v18, v18, 2.0, -v23
	v_sub_f16_sdwa v26, v13, v15 dst_sel:DWORD dst_unused:UNUSED_PAD src0_sel:DWORD src1_sel:WORD_1
	v_add_f16_e32 v27, v15, v24
	v_lshrrev_b32_e32 v28, 16, v11
	v_fmamk_f16 v29, v8, 0xb9a8, v9
	v_fmamk_f16 v30, v18, 0xb9a8, v25
	v_sub_f16_sdwa v34, v11, v20 dst_sel:DWORD dst_unused:UNUSED_PAD src0_sel:DWORD src1_sel:WORD_1
	v_pk_fma_f16 v0, v0, 2.0, v12 op_sel_hi:[1,0,1] neg_lo:[0,0,1] neg_hi:[0,0,1]
	v_pk_fma_f16 v4, v4, 2.0, v14 op_sel_hi:[1,0,1] neg_lo:[0,0,1] neg_hi:[0,0,1]
	;; [unrolled: 1-line block ×4, first 2 shown]
	v_fma_f16 v33, v13, 2.0, -v26
	v_add_f16_e32 v35, v20, v28
	v_fmac_f16_e32 v29, 0xb9a8, v18
	v_fmac_f16_e32 v30, 0x39a8, v8
	v_fma_f16 v18, v24, 2.0, -v27
	v_fma_f16 v24, v11, 2.0, -v34
	v_pk_add_f16 v4, v0, v4 neg_lo:[0,1] neg_hi:[0,1]
	v_pk_add_f16 v6, v2, v6 neg_lo:[0,1] neg_hi:[0,1]
	v_fma_f16 v28, v28, 2.0, -v35
	v_fma_f16 v8, v9, 2.0, -v29
	;; [unrolled: 1-line block ×3, first 2 shown]
	v_fmamk_f16 v25, v22, 0x39a8, v19
	v_fmamk_f16 v10, v23, 0x39a8, v21
	v_pk_fma_f16 v12, v1, 2.0, v13 op_sel_hi:[1,0,1] neg_lo:[0,0,1] neg_hi:[0,0,1]
	v_pk_fma_f16 v5, v5, 2.0, v15 op_sel_hi:[1,0,1] neg_lo:[0,0,1] neg_hi:[0,0,1]
	;; [unrolled: 1-line block ×6, first 2 shown]
	v_fmamk_f16 v15, v24, 0xb9a8, v33
	v_fmac_f16_e32 v25, 0xb9a8, v23
	v_fmac_f16_e32 v10, 0x39a8, v22
	v_pk_add_f16 v13, v12, v5 neg_lo:[0,1] neg_hi:[0,1]
	v_pk_add_f16 v14, v11, v3 neg_lo:[0,1] neg_hi:[0,1]
	v_pk_add_f16 v0, v7, v0 neg_lo:[0,1] neg_hi:[0,1]
	v_fmac_f16_e32 v15, 0xb9a8, v28
	v_fma_f16 v1, v19, 2.0, -v25
	v_fma_f16 v3, v21, 2.0, -v10
	v_lshrrev_b32_e32 v5, 16, v4
	v_pk_fma_f16 v2, v7, 2.0, v0 op_sel_hi:[1,0,1] neg_lo:[0,0,1] neg_hi:[0,0,1]
	v_sub_f16_sdwa v7, v4, v6 dst_sel:DWORD dst_unused:UNUSED_PAD src0_sel:DWORD src1_sel:WORD_1
	v_fmamk_f16 v21, v28, 0xb9a8, v18
	v_lshrrev_b32_e32 v17, 16, v13
	v_fmamk_f16 v23, v34, 0x39a8, v26
	v_fma_f16 v19, v33, 2.0, -v15
	v_fmamk_f16 v28, v35, 0x39a8, v27
	v_sub_f16_sdwa v33, v13, v14 dst_sel:DWORD dst_unused:UNUSED_PAD src0_sel:DWORD src1_sel:WORD_1
	v_pk_fma_f16 v12, v12, 2.0, v13 op_sel_hi:[1,0,1] neg_lo:[0,0,1] neg_hi:[0,0,1]
	v_pk_fma_f16 v11, v11, 2.0, v14 op_sel_hi:[1,0,1] neg_lo:[0,0,1] neg_hi:[0,0,1]
	v_add_f16_e32 v6, v6, v5
	v_fma_f16 v4, v4, 2.0, -v7
	v_add_f16_e32 v14, v14, v17
	v_fmac_f16_e32 v23, 0xb9a8, v35
	v_fmac_f16_e32 v28, 0x39a8, v34
	v_fma_f16 v13, v13, 2.0, -v33
	v_fma_f16 v5, v5, 2.0, -v6
	v_fmac_f16_e32 v21, 0x39a8, v24
	v_fma_f16 v20, v17, 2.0, -v14
	v_fma_f16 v22, v26, 2.0, -v23
	v_fma_f16 v26, v27, 2.0, -v28
	v_fmamk_f16 v17, v13, 0xb9a8, v4
	v_fma_f16 v18, v18, 2.0, -v21
	v_fmamk_f16 v24, v19, 0xbb64, v8
	v_fmamk_f16 v37, v20, 0xb9a8, v5
	;; [unrolled: 1-line block ×3, first 2 shown]
	v_fmac_f16_e32 v17, 0xb9a8, v20
	v_fmamk_f16 v20, v15, 0x361f, v29
	v_pk_add_f16 v11, v12, v11 neg_lo:[0,1] neg_hi:[0,1]
	v_fmamk_f16 v42, v18, 0xbb64, v9
	v_fmac_f16_e32 v24, 0xb61f, v18
	v_fmamk_f16 v18, v22, 0xb61f, v1
	v_fmamk_f16 v38, v21, 0x361f, v30
	v_fmac_f16_e32 v36, 0x3b64, v22
	v_fmac_f16_e32 v20, 0xbb64, v21
	v_fmamk_f16 v21, v33, 0x39a8, v7
	v_fmamk_f16 v40, v14, 0x39a8, v6
	;; [unrolled: 1-line block ×4, first 2 shown]
	v_pk_fma_f16 v12, v12, 2.0, v11 op_sel_hi:[1,0,1] neg_lo:[0,0,1] neg_hi:[0,0,1]
	v_fmac_f16_e32 v38, 0x3b64, v15
	v_fmac_f16_e32 v21, 0xb9a8, v14
	v_fmac_f16_e32 v40, 0x39a8, v33
	v_fmac_f16_e32 v22, 0xb61f, v28
	v_fmac_f16_e32 v39, 0x361f, v23
	v_pk_add_f16 v12, v2, v12 neg_lo:[0,1] neg_hi:[0,1]
	v_fmac_f16_e32 v42, 0x361f, v19
	v_fmac_f16_e32 v37, 0x39a8, v13
	;; [unrolled: 1-line block ×3, first 2 shown]
	v_pk_add_f16 v19, v0, v11 op_sel:[0,1] op_sel_hi:[1,0] neg_lo:[0,1] neg_hi:[0,1]
	v_pk_add_f16 v41, v0, v11 op_sel:[0,1] op_sel_hi:[1,0]
	v_fma_f16 v26, v29, 2.0, -v20
	v_fma_f16 v43, v30, 2.0, -v38
	;; [unrolled: 1-line block ×6, first 2 shown]
	v_lshlrev_b16 v34, 4, v32
	s_barrier
	buffer_gl0_inv
	s_and_saveexec_b32 s4, vcc_lo
	s_cbranch_execz .LBB0_7
; %bb.6:
	v_fma_f16 v7, v1, 2.0, -v18
	v_fma_f16 v3, v3, 2.0, -v36
	v_mov_b32_e32 v1, 2
	v_fma_f16 v10, v4, 2.0, -v17
	v_fma_f16 v5, v5, 2.0, -v37
	v_fma_f16 v8, v8, 2.0, -v24
	v_fma_f16 v9, v9, 2.0, -v42
	v_bfi_b32 v6, 0xffff, v19, v41
	v_lshlrev_b32_sdwa v11, v1, v34 dst_sel:DWORD dst_unused:UNUSED_PAD src0_sel:DWORD src1_sel:WORD_0
	v_pk_fma_f16 v1, v2, 2.0, v12 op_sel_hi:[1,0,1] neg_lo:[0,0,1] neg_hi:[0,0,1]
	v_pack_b32_f16 v4, v7, v3
	v_pack_b32_f16 v3, v10, v5
	;; [unrolled: 1-line block ×3, first 2 shown]
	v_pk_fma_f16 v46, v0, 2.0, v6 op_sel_hi:[1,0,1] neg_lo:[0,0,1] neg_hi:[0,0,1]
	v_perm_b32 v49, v45, v30, 0x5040100
	v_perm_b32 v48, v44, v29, 0x5040100
	;; [unrolled: 1-line block ×9, first 2 shown]
	ds_write_b128 v11, v[1:4]
	ds_write_b128 v11, v[46:49] offset:16
	ds_write_b128 v11, v[12:15] offset:32
	;; [unrolled: 1-line block ×3, first 2 shown]
.LBB0_7:
	s_or_b32 exec_lo, exec_lo, s4
	v_and_b32_e32 v7, 15, v32
	s_load_dwordx4 s[4:7], s[0:1], 0x0
	s_waitcnt lgkmcnt(0)
	s_barrier
	buffer_gl0_inv
	v_lshlrev_b32_e32 v0, 4, v7
	v_add_nc_u32_e32 v4, 0x400, v31
	v_lshrrev_b32_e32 v9, 4, v32
	v_cmp_gt_u16_e64 s0, 0x50, v32
	global_load_dwordx4 v[0:3], v0, s[2:3]
	ds_read2_b32 v[13:14], v31 offset1:160
	ds_read2_b32 v[5:6], v4 offset0:64 offset1:224
	ds_read_b32 v8, v31 offset:2560
	v_mul_u32_u24_e32 v9, 0x50, v9
	s_waitcnt vmcnt(0) lgkmcnt(0)
	s_barrier
	buffer_gl0_inv
	v_or_b32_e32 v7, v9, v7
	v_lshlrev_b32_e32 v33, 2, v7
	v_lshrrev_b32_e32 v7, 16, v14
	v_lshrrev_b32_e32 v9, 16, v5
	;; [unrolled: 1-line block ×5, first 2 shown]
	v_mul_f16_sdwa v15, v7, v0 dst_sel:DWORD dst_unused:UNUSED_PAD src0_sel:DWORD src1_sel:WORD_1
	v_mul_f16_sdwa v23, v14, v0 dst_sel:DWORD dst_unused:UNUSED_PAD src0_sel:DWORD src1_sel:WORD_1
	;; [unrolled: 1-line block ×8, first 2 shown]
	v_fma_f16 v14, v14, v0, -v15
	v_fmac_f16_e32 v23, v7, v0
	v_fma_f16 v5, v5, v1, -v25
	v_fmac_f16_e32 v27, v9, v1
	;; [unrolled: 2-line block ×4, first 2 shown]
	v_add_f16_e32 v8, v13, v14
	v_add_f16_e32 v9, v5, v6
	;; [unrolled: 1-line block ×5, first 2 shown]
	v_sub_f16_e32 v10, v23, v48
	v_sub_f16_e32 v15, v14, v5
	;; [unrolled: 1-line block ×5, first 2 shown]
	v_add_f16_e32 v51, v46, v23
	v_sub_f16_e32 v53, v14, v7
	v_fma_f16 v25, -0.5, v9, v13
	v_fmac_f16_e32 v13, -0.5, v47
	v_fma_f16 v47, -0.5, v52, v46
	v_sub_f16_e32 v11, v27, v35
	v_sub_f16_e32 v54, v5, v6
	v_sub_f16_e32 v14, v23, v27
	v_sub_f16_e32 v55, v48, v35
	v_fmac_f16_e32 v46, -0.5, v56
	v_add_f16_e32 v5, v8, v5
	v_add_f16_e32 v8, v15, v28
	;; [unrolled: 1-line block ×4, first 2 shown]
	v_fmamk_f16 v28, v10, 0x3b9c, v25
	v_fmamk_f16 v49, v53, 0xbb9c, v47
	v_sub_f16_e32 v23, v27, v23
	v_sub_f16_e32 v57, v35, v48
	v_add_f16_e32 v51, v14, v55
	v_fmamk_f16 v14, v11, 0xbb9c, v13
	v_fmac_f16_e32 v13, 0x3b9c, v11
	v_fmamk_f16 v50, v54, 0x3b9c, v46
	v_fmac_f16_e32 v46, 0xbb9c, v54
	v_fmac_f16_e32 v25, 0xbb9c, v10
	;; [unrolled: 1-line block ×3, first 2 shown]
	v_add_f16_e32 v5, v5, v6
	v_add_f16_e32 v6, v15, v35
	v_fmac_f16_e32 v28, 0x38b4, v11
	v_fmac_f16_e32 v49, 0xb8b4, v54
	v_add_f16_e32 v23, v23, v57
	v_fmac_f16_e32 v14, 0x38b4, v10
	v_fmac_f16_e32 v13, 0xb8b4, v10
	;; [unrolled: 1-line block ×6, first 2 shown]
	v_add_f16_e32 v27, v5, v7
	v_add_f16_e32 v48, v6, v48
	v_fmac_f16_e32 v28, 0x34f2, v8
	v_fmac_f16_e32 v49, 0x34f2, v51
	;; [unrolled: 1-line block ×8, first 2 shown]
	v_pack_b32_f16 v5, v27, v48
	v_pack_b32_f16 v6, v28, v49
	;; [unrolled: 1-line block ×5, first 2 shown]
	ds_write2_b32 v33, v5, v6 offset1:16
	ds_write2_b32 v33, v7, v8 offset0:32 offset1:48
	ds_write_b32 v33, v9 offset:256
	s_waitcnt lgkmcnt(0)
	s_barrier
	buffer_gl0_inv
	s_and_saveexec_b32 s1, s0
	s_cbranch_execz .LBB0_9
; %bb.8:
	v_add_nc_u32_e32 v5, 0x600, v31
	v_add_nc_u32_e32 v6, 0x800, v31
	ds_read2_b32 v[27:28], v31 offset1:80
	ds_read2_b32 v[14:15], v31 offset0:160 offset1:240
	ds_read2_b32 v[25:26], v4 offset0:64 offset1:144
	;; [unrolled: 1-line block ×4, first 2 shown]
	s_waitcnt lgkmcnt(4)
	v_lshrrev_b32_e32 v48, 16, v27
	v_lshrrev_b32_e32 v49, 16, v28
	s_waitcnt lgkmcnt(3)
	v_lshrrev_b32_e32 v50, 16, v14
	v_lshrrev_b32_e32 v46, 16, v15
	;; [unrolled: 3-line block ×3, first 2 shown]
	v_mov_b32_e32 v13, v15
	s_waitcnt lgkmcnt(1)
	v_lshrrev_b32_e32 v44, 16, v29
	v_lshrrev_b32_e32 v45, 16, v30
	s_waitcnt lgkmcnt(0)
	v_lshrrev_b32_e32 v42, 16, v24
	v_mov_b32_e32 v12, v23
.LBB0_9:
	s_or_b32 exec_lo, exec_lo, s1
	v_add_nc_u32_e32 v4, 0xffffffb0, v32
	v_lshrrev_b32_e32 v15, 16, v12
	v_cndmask_b32_e64 v4, v4, v32, s0
	v_mul_i32_i24_e32 v5, 36, v4
	v_mul_hi_i32_i24_e32 v4, 36, v4
	v_add_co_u32 v51, s1, s2, v5
	v_add_co_ci_u32_e64 v52, s1, s3, v4, s1
	s_clause 0x2
	global_load_dwordx4 v[4:7], v[51:52], off offset:256
	global_load_dwordx4 v[8:11], v[51:52], off offset:272
	global_load_dword v35, v[51:52], off offset:288
	s_waitcnt vmcnt(2)
	v_mul_f16_sdwa v23, v49, v4 dst_sel:DWORD dst_unused:UNUSED_PAD src0_sel:DWORD src1_sel:WORD_1
	v_mul_f16_sdwa v51, v28, v4 dst_sel:DWORD dst_unused:UNUSED_PAD src0_sel:DWORD src1_sel:WORD_1
	;; [unrolled: 1-line block ×8, first 2 shown]
	s_waitcnt vmcnt(1)
	v_mul_f16_sdwa v58, v43, v8 dst_sel:DWORD dst_unused:UNUSED_PAD src0_sel:DWORD src1_sel:WORD_1
	v_mul_f16_sdwa v59, v26, v8 dst_sel:DWORD dst_unused:UNUSED_PAD src0_sel:DWORD src1_sel:WORD_1
	v_mul_f16_sdwa v60, v44, v9 dst_sel:DWORD dst_unused:UNUSED_PAD src0_sel:DWORD src1_sel:WORD_1
	v_mul_f16_sdwa v61, v29, v9 dst_sel:DWORD dst_unused:UNUSED_PAD src0_sel:DWORD src1_sel:WORD_1
	v_mul_f16_sdwa v62, v45, v10 dst_sel:DWORD dst_unused:UNUSED_PAD src0_sel:DWORD src1_sel:WORD_1
	v_mul_f16_sdwa v63, v30, v10 dst_sel:DWORD dst_unused:UNUSED_PAD src0_sel:DWORD src1_sel:WORD_1
	v_mul_f16_sdwa v64, v15, v11 dst_sel:DWORD dst_unused:UNUSED_PAD src0_sel:DWORD src1_sel:WORD_1
	v_mul_f16_sdwa v65, v12, v11 dst_sel:DWORD dst_unused:UNUSED_PAD src0_sel:DWORD src1_sel:WORD_1
	s_waitcnt vmcnt(0)
	v_mul_f16_sdwa v66, v42, v35 dst_sel:DWORD dst_unused:UNUSED_PAD src0_sel:DWORD src1_sel:WORD_1
	v_mul_f16_sdwa v67, v24, v35 dst_sel:DWORD dst_unused:UNUSED_PAD src0_sel:DWORD src1_sel:WORD_1
	v_fma_f16 v23, v28, v4, -v23
	v_fmac_f16_e32 v51, v49, v4
	v_fma_f16 v14, v14, v5, -v52
	v_fmac_f16_e32 v53, v50, v5
	;; [unrolled: 2-line block ×9, first 2 shown]
	v_add_f16_e32 v24, v27, v14
	v_add_f16_e32 v30, v25, v28
	v_sub_f16_e32 v42, v53, v65
	v_sub_f16_e32 v44, v14, v25
	v_sub_f16_e32 v45, v12, v28
	v_add_f16_e32 v46, v14, v12
	v_sub_f16_e32 v47, v25, v14
	v_sub_f16_e32 v49, v28, v12
	v_add_f16_e32 v50, v48, v53
	v_sub_f16_e32 v56, v53, v57
	v_sub_f16_e32 v58, v65, v61
	;; [unrolled: 3-line block ×3, first 2 shown]
	v_add_f16_e32 v64, v23, v13
	v_add_f16_e32 v66, v26, v29
	;; [unrolled: 1-line block ×7, first 2 shown]
	v_sub_f16_e32 v54, v25, v28
	v_sub_f16_e32 v68, v55, v67
	;; [unrolled: 1-line block ×7, first 2 shown]
	v_add_f16_e32 v24, v24, v25
	v_add_f16_e32 v25, v44, v45
	v_fma_f16 v82, -0.5, v30, v27
	v_fmac_f16_e32 v27, -0.5, v46
	v_add_f16_e32 v30, v47, v49
	v_add_f16_e32 v44, v50, v57
	v_add_f16_e32 v45, v56, v58
	v_add_f16_e32 v46, v53, v62
	v_add_f16_e32 v26, v64, v26
	v_fma_f16 v47, -0.5, v66, v23
	v_fmac_f16_e32 v23, -0.5, v72
	v_add_f16_e32 v53, v75, v59
	v_fma_f16 v56, -0.5, v76, v51
	v_fmac_f16_e32 v51, -0.5, v80
	v_sub_f16_e32 v43, v57, v61
	v_sub_f16_e32 v71, v15, v29
	;; [unrolled: 1-line block ×7, first 2 shown]
	v_fma_f16 v50, -0.5, v52, v48
	v_fmac_f16_e32 v48, -0.5, v60
	v_add_f16_e32 v44, v44, v61
	v_add_f16_e32 v26, v26, v29
	v_fmamk_f16 v61, v68, 0x3b9c, v47
	v_fmac_f16_e32 v47, 0xbb9c, v68
	v_fmamk_f16 v62, v69, 0xbb9c, v23
	v_fmac_f16_e32 v23, 0x3b9c, v69
	v_add_f16_e32 v29, v53, v63
	v_fmamk_f16 v53, v13, 0xbb9c, v56
	v_fmac_f16_e32 v56, 0x3b9c, v13
	v_fmamk_f16 v63, v77, 0x3b9c, v51
	v_fmac_f16_e32 v51, 0xbb9c, v77
	v_sub_f16_e32 v14, v14, v12
	v_add_f16_e32 v49, v70, v71
	v_add_f16_e32 v52, v73, v74
	;; [unrolled: 1-line block ×5, first 2 shown]
	v_fmamk_f16 v28, v42, 0x3b9c, v82
	v_fmac_f16_e32 v82, 0xbb9c, v42
	v_fmamk_f16 v58, v43, 0xbb9c, v27
	v_fmac_f16_e32 v27, 0x3b9c, v43
	;; [unrolled: 2-line block ×3, first 2 shown]
	v_fmac_f16_e32 v61, 0x38b4, v69
	v_fmac_f16_e32 v47, 0xb8b4, v69
	;; [unrolled: 1-line block ×8, first 2 shown]
	v_fmamk_f16 v59, v14, 0xbb9c, v50
	v_fmac_f16_e32 v50, 0x3b9c, v14
	v_add_f16_e32 v24, v24, v12
	v_fmac_f16_e32 v28, 0x38b4, v43
	v_fmac_f16_e32 v82, 0xb8b4, v43
	;; [unrolled: 1-line block ×4, first 2 shown]
	v_add_f16_e32 v42, v44, v65
	v_fmac_f16_e32 v60, 0xb8b4, v14
	v_fmac_f16_e32 v48, 0x38b4, v14
	v_add_f16_e32 v14, v26, v15
	v_add_f16_e32 v26, v29, v67
	v_fmac_f16_e32 v61, 0x34f2, v49
	v_fmac_f16_e32 v47, 0x34f2, v49
	;; [unrolled: 1-line block ×14, first 2 shown]
	v_add_f16_e32 v12, v24, v14
	v_add_f16_e32 v30, v42, v26
	v_sub_f16_e32 v15, v24, v14
	v_sub_f16_e32 v29, v42, v26
	v_mul_f16_e32 v25, 0x38b4, v53
	v_mul_f16_e32 v26, 0x3b9c, v63
	;; [unrolled: 1-line block ×8, first 2 shown]
	v_fmac_f16_e32 v59, 0x34f2, v45
	v_fmac_f16_e32 v50, 0x34f2, v45
	;; [unrolled: 1-line block ×6, first 2 shown]
	v_fma_f16 v46, v51, 0x3b9c, -v13
	v_fma_f16 v51, v56, 0x38b4, -v14
	v_fmac_f16_e32 v43, 0x3a79, v53
	v_fmac_f16_e32 v49, 0x34f2, v63
	v_fma_f16 v52, v23, 0xbb9c, -v24
	v_fma_f16 v53, v47, 0xb8b4, -v42
	v_add_f16_e32 v13, v28, v25
	v_add_f16_e32 v23, v58, v26
	;; [unrolled: 1-line block ×8, first 2 shown]
	v_sub_f16_e32 v25, v28, v25
	v_sub_f16_e32 v26, v58, v26
	;; [unrolled: 1-line block ×8, first 2 shown]
	s_and_saveexec_b32 s1, s0
	s_cbranch_execz .LBB0_11
; %bb.10:
	v_perm_b32 v50, v30, v12, 0x5040100
	v_perm_b32 v51, v44, v13, 0x5040100
	;; [unrolled: 1-line block ×6, first 2 shown]
	v_add_nc_u32_e32 v56, 0x400, v31
	v_perm_b32 v57, v46, v25, 0x5040100
	v_perm_b32 v58, v43, v26, 0x5040100
	v_add_nc_u32_e32 v59, 0x600, v31
	v_perm_b32 v60, v49, v27, 0x5040100
	v_perm_b32 v61, v48, v28, 0x5040100
	v_add_nc_u32_e32 v62, 0x800, v31
	ds_write2_b32 v31, v50, v51 offset1:80
	ds_write2_b32 v31, v52, v53 offset0:160 offset1:240
	ds_write2_b32 v56, v54, v55 offset0:64 offset1:144
	;; [unrolled: 1-line block ×4, first 2 shown]
.LBB0_11:
	s_or_b32 exec_lo, exec_lo, s1
	s_waitcnt lgkmcnt(0)
	s_barrier
	buffer_gl0_inv
	s_and_saveexec_b32 s2, vcc_lo
	s_cbranch_execz .LBB0_13
; %bb.12:
	v_add_co_u32 v52, s1, s18, v31
	v_add_co_ci_u32_e64 v53, null, s19, 0, s1
	v_add_nc_u32_e32 v78, 0x200, v31
	v_add_co_u32 v50, s1, 0x800, v52
	v_add_co_ci_u32_e64 v51, s1, 0, v53, s1
	v_add_nc_u32_e32 v79, 0x400, v31
	v_add_nc_u32_e32 v80, 0x800, v31
	global_load_dword v54, v[50:51], off offset:1152
	v_add_co_u32 v50, s1, 0x1800, v52
	v_add_co_ci_u32_e64 v51, s1, 0, v53, s1
	global_load_dword v56, v[50:51], off offset:56
	v_add_co_u32 v50, s1, 0xc80, v52
	v_add_co_ci_u32_e64 v51, s1, 0, v53, s1
	v_add_co_u32 v52, s1, 0x1000, v52
	s_clause 0x5
	global_load_dword v64, v[50:51], off offset:200
	global_load_dword v65, v[50:51], off offset:400
	;; [unrolled: 1-line block ×6, first 2 shown]
	v_add_co_ci_u32_e64 v53, s1, 0, v53, s1
	s_clause 0x7
	global_load_dword v70, v[50:51], off offset:1400
	global_load_dword v71, v[50:51], off offset:1600
	;; [unrolled: 1-line block ×8, first 2 shown]
	ds_read_b32 v50, v31
	ds_read_b32 v57, v31 offset:3000
	s_waitcnt lgkmcnt(1)
	v_lshrrev_b32_e32 v51, 16, v50
	s_waitcnt lgkmcnt(0)
	v_lshrrev_b32_e32 v58, 16, v57
	s_waitcnt vmcnt(15)
	v_mul_f16_sdwa v52, v51, v54 dst_sel:DWORD dst_unused:UNUSED_PAD src0_sel:DWORD src1_sel:WORD_1
	v_mul_f16_sdwa v53, v50, v54 dst_sel:DWORD dst_unused:UNUSED_PAD src0_sel:DWORD src1_sel:WORD_1
	v_fma_f16 v50, v50, v54, -v52
	v_fmac_f16_e32 v53, v51, v54
	s_waitcnt vmcnt(14)
	v_mul_f16_sdwa v59, v58, v56 dst_sel:DWORD dst_unused:UNUSED_PAD src0_sel:DWORD src1_sel:WORD_1
	v_mul_f16_sdwa v60, v57, v56 dst_sel:DWORD dst_unused:UNUSED_PAD src0_sel:DWORD src1_sel:WORD_1
	v_pack_b32_f16 v50, v50, v53
	v_fma_f16 v61, v57, v56, -v59
	v_fmac_f16_e32 v60, v58, v56
	ds_write_b32 v31, v50
	ds_read2_b32 v[50:51], v31 offset0:50 offset1:100
	ds_read2_b32 v[52:53], v31 offset0:150 offset1:200
	ds_read2_b32 v[54:55], v78 offset0:122 offset1:172
	ds_read2_b32 v[56:57], v79 offset0:94 offset1:144
	ds_read2_b32 v[58:59], v79 offset0:194 offset1:244
	v_pack_b32_f16 v81, v61, v60
	ds_read2_b32 v[60:61], v80 offset0:38 offset1:88
	ds_read2_b32 v[62:63], v80 offset0:138 offset1:188
	s_waitcnt lgkmcnt(6)
	v_lshrrev_b32_e32 v82, 16, v50
	s_waitcnt vmcnt(13)
	v_mul_f16_sdwa v83, v50, v64 dst_sel:DWORD dst_unused:UNUSED_PAD src0_sel:DWORD src1_sel:WORD_1
	v_lshrrev_b32_e32 v84, 16, v51
	s_waitcnt vmcnt(12)
	v_mul_f16_sdwa v85, v51, v65 dst_sel:DWORD dst_unused:UNUSED_PAD src0_sel:DWORD src1_sel:WORD_1
	s_waitcnt lgkmcnt(5)
	v_lshrrev_b32_e32 v86, 16, v52
	s_waitcnt vmcnt(11)
	v_mul_f16_sdwa v87, v52, v66 dst_sel:DWORD dst_unused:UNUSED_PAD src0_sel:DWORD src1_sel:WORD_1
	v_lshrrev_b32_e32 v88, 16, v53
	s_waitcnt vmcnt(10)
	v_mul_f16_sdwa v89, v53, v67 dst_sel:DWORD dst_unused:UNUSED_PAD src0_sel:DWORD src1_sel:WORD_1
	;; [unrolled: 7-line block ×6, first 2 shown]
	s_waitcnt lgkmcnt(0)
	v_lshrrev_b32_e32 v106, 16, v62
	s_waitcnt vmcnt(1)
	v_mul_f16_sdwa v107, v62, v76 dst_sel:DWORD dst_unused:UNUSED_PAD src0_sel:DWORD src1_sel:WORD_1
	v_lshrrev_b32_e32 v108, 16, v63
	v_mul_f16_sdwa v110, v82, v64 dst_sel:DWORD dst_unused:UNUSED_PAD src0_sel:DWORD src1_sel:WORD_1
	v_fmac_f16_e32 v83, v82, v64
	v_mul_f16_sdwa v82, v84, v65 dst_sel:DWORD dst_unused:UNUSED_PAD src0_sel:DWORD src1_sel:WORD_1
	v_fmac_f16_e32 v85, v84, v65
	v_mul_f16_sdwa v84, v86, v66 dst_sel:DWORD dst_unused:UNUSED_PAD src0_sel:DWORD src1_sel:WORD_1
	v_fmac_f16_e32 v87, v86, v66
	v_mul_f16_sdwa v86, v88, v67 dst_sel:DWORD dst_unused:UNUSED_PAD src0_sel:DWORD src1_sel:WORD_1
	v_fmac_f16_e32 v89, v88, v67
	v_mul_f16_sdwa v88, v90, v68 dst_sel:DWORD dst_unused:UNUSED_PAD src0_sel:DWORD src1_sel:WORD_1
	v_fmac_f16_e32 v91, v90, v68
	v_mul_f16_sdwa v90, v92, v69 dst_sel:DWORD dst_unused:UNUSED_PAD src0_sel:DWORD src1_sel:WORD_1
	v_fmac_f16_e32 v93, v92, v69
	v_mul_f16_sdwa v92, v94, v70 dst_sel:DWORD dst_unused:UNUSED_PAD src0_sel:DWORD src1_sel:WORD_1
	v_fmac_f16_e32 v95, v94, v70
	v_mul_f16_sdwa v94, v96, v71 dst_sel:DWORD dst_unused:UNUSED_PAD src0_sel:DWORD src1_sel:WORD_1
	v_fmac_f16_e32 v97, v96, v71
	v_mul_f16_sdwa v96, v98, v72 dst_sel:DWORD dst_unused:UNUSED_PAD src0_sel:DWORD src1_sel:WORD_1
	v_fmac_f16_e32 v99, v98, v72
	v_mul_f16_sdwa v98, v100, v73 dst_sel:DWORD dst_unused:UNUSED_PAD src0_sel:DWORD src1_sel:WORD_1
	s_waitcnt vmcnt(0)
	v_mul_f16_sdwa v109, v63, v77 dst_sel:DWORD dst_unused:UNUSED_PAD src0_sel:DWORD src1_sel:WORD_1
	v_fmac_f16_e32 v101, v100, v73
	v_mul_f16_sdwa v100, v102, v74 dst_sel:DWORD dst_unused:UNUSED_PAD src0_sel:DWORD src1_sel:WORD_1
	v_fmac_f16_e32 v103, v102, v74
	;; [unrolled: 2-line block ×4, first 2 shown]
	v_mul_f16_sdwa v106, v108, v77 dst_sel:DWORD dst_unused:UNUSED_PAD src0_sel:DWORD src1_sel:WORD_1
	v_fma_f16 v50, v50, v64, -v110
	v_fma_f16 v51, v51, v65, -v82
	;; [unrolled: 1-line block ×10, first 2 shown]
	v_fmac_f16_e32 v109, v108, v77
	v_fma_f16 v60, v60, v74, -v100
	v_fma_f16 v61, v61, v75, -v102
	;; [unrolled: 1-line block ×4, first 2 shown]
	v_pack_b32_f16 v50, v50, v83
	v_pack_b32_f16 v51, v51, v85
	;; [unrolled: 1-line block ×14, first 2 shown]
	ds_write2_b32 v31, v50, v51 offset0:50 offset1:100
	ds_write2_b32 v31, v52, v53 offset0:150 offset1:200
	;; [unrolled: 1-line block ×7, first 2 shown]
	ds_write_b32 v31, v81 offset:3000
.LBB0_13:
	s_or_b32 exec_lo, exec_lo, s2
	v_lshrrev_b32_e32 v41, 16, v41
	s_waitcnt lgkmcnt(0)
	s_barrier
	buffer_gl0_inv
	s_and_saveexec_b32 s1, vcc_lo
	s_cbranch_execz .LBB0_15
; %bb.14:
	v_add_nc_u32_e32 v17, 0x400, v31
	v_add_nc_u32_e32 v18, 0x600, v31
	;; [unrolled: 1-line block ×3, first 2 shown]
	ds_read2_b32 v[12:13], v31 offset1:50
	ds_read2_b32 v[23:24], v31 offset0:100 offset1:150
	ds_read2_b32 v[14:15], v31 offset0:200 offset1:250
	;; [unrolled: 1-line block ×7, first 2 shown]
	s_waitcnt lgkmcnt(6)
	v_lshrrev_b32_e32 v45, 16, v23
	v_lshrrev_b32_e32 v30, 16, v12
	;; [unrolled: 1-line block ×4, first 2 shown]
	s_waitcnt lgkmcnt(5)
	v_lshrrev_b32_e32 v47, 16, v14
	v_lshrrev_b32_e32 v29, 16, v15
	s_waitcnt lgkmcnt(4)
	v_lshrrev_b32_e32 v46, 16, v25
	v_lshrrev_b32_e32 v43, 16, v26
	;; [unrolled: 3-line block ×6, first 2 shown]
.LBB0_15:
	s_or_b32 exec_lo, exec_lo, s1
	v_sub_f16_e32 v27, v12, v27
	v_sub_f16_e32 v49, v30, v49
	;; [unrolled: 1-line block ×8, first 2 shown]
	v_fma_f16 v12, v12, 2.0, -v27
	v_fma_f16 v30, v30, 2.0, -v49
	v_fma_f16 v14, v14, 2.0, -v50
	v_fma_f16 v47, v47, 2.0, -v41
	v_sub_f16_e32 v51, v13, v28
	v_fma_f16 v28, v45, 2.0, -v37
	v_sub_f16_e32 v45, v44, v48
	v_fma_f16 v25, v25, 2.0, -v21
	v_fma_f16 v46, v46, 2.0, -v40
	v_sub_f16_e32 v48, v15, v20
	v_sub_f16_e32 v38, v29, v38
	;; [unrolled: 1-line block ×7, first 2 shown]
	v_fma_f16 v23, v23, 2.0, -v17
	v_fma_f16 v13, v13, 2.0, -v51
	v_sub_f16_e32 v36, v42, v36
	v_fma_f16 v15, v15, 2.0, -v48
	v_fma_f16 v53, v26, 2.0, -v22
	v_sub_f16_e32 v19, v12, v14
	v_sub_f16_e32 v14, v30, v47
	v_add_f16_e32 v26, v41, v27
	v_fma_f16 v47, v49, 2.0, -v20
	v_sub_f16_e32 v46, v28, v46
	v_add_f16_e32 v49, v40, v17
	v_fma_f16 v37, v37, 2.0, -v21
	v_add_f16_e32 v39, v38, v51
	v_add_f16_e32 v59, v52, v18
	v_fma_f16 v44, v44, 2.0, -v45
	v_fma_f16 v29, v29, 2.0, -v38
	v_fma_f16 v24, v24, 2.0, -v18
	v_fma_f16 v42, v42, 2.0, -v36
	v_fma_f16 v41, v43, 2.0, -v52
	v_fma_f16 v30, v30, 2.0, -v14
	v_fma_f16 v43, v27, 2.0, -v26
	v_sub_f16_e32 v25, v23, v25
	v_sub_f16_e32 v27, v13, v15
	v_fma_f16 v15, v28, 2.0, -v46
	v_fma_f16 v17, v17, 2.0, -v49
	v_sub_f16_e32 v40, v45, v48
	v_fma_f16 v54, v51, 2.0, -v39
	v_sub_f16_e32 v22, v36, v22
	v_fmamk_f16 v61, v37, 0xb9a8, v47
	v_fma_f16 v18, v18, 2.0, -v59
	v_fma_f16 v12, v12, 2.0, -v19
	;; [unrolled: 1-line block ×3, first 2 shown]
	v_sub_f16_e32 v28, v44, v29
	v_sub_f16_e32 v50, v24, v53
	v_sub_f16_e32 v53, v42, v41
	v_fma_f16 v58, v45, 2.0, -v40
	v_fmamk_f16 v60, v17, 0xb9a8, v43
	v_sub_f16_e32 v38, v30, v15
	v_fmac_f16_e32 v61, 0xb9a8, v17
	v_fma_f16 v15, v36, 2.0, -v22
	v_fmamk_f16 v17, v18, 0xb9a8, v54
	v_fma_f16 v44, v44, 2.0, -v28
	v_fma_f16 v42, v42, 2.0, -v53
	v_sub_f16_e32 v41, v12, v23
	v_fmamk_f16 v52, v49, 0x39a8, v26
	v_fmamk_f16 v51, v21, 0x39a8, v20
	;; [unrolled: 1-line block ×3, first 2 shown]
	v_fmac_f16_e32 v17, 0x39a8, v15
	v_fmamk_f16 v56, v59, 0x39a8, v39
	v_fmamk_f16 v57, v22, 0x39a8, v40
	v_fma_f16 v13, v13, 2.0, -v27
	v_fma_f16 v24, v24, 2.0, -v50
	v_fmac_f16_e32 v60, 0x39a8, v37
	v_fma_f16 v37, v47, 2.0, -v61
	v_add_f16_e32 v47, v46, v19
	v_sub_f16_e32 v45, v14, v25
	v_fmac_f16_e32 v52, 0x39a8, v21
	v_sub_f16_e32 v55, v44, v42
	v_fmac_f16_e32 v51, 0xb9a8, v49
	v_fmac_f16_e32 v23, 0xb9a8, v18
	v_fma_f16 v18, v54, 2.0, -v17
	v_add_f16_e32 v53, v53, v27
	v_sub_f16_e32 v54, v28, v50
	v_fmac_f16_e32 v56, 0x39a8, v22
	v_fmac_f16_e32 v57, 0xb9a8, v59
	v_fma_f16 v36, v43, 2.0, -v60
	v_sub_f16_e32 v48, v13, v24
	v_fma_f16 v15, v44, 2.0, -v55
	v_fma_f16 v25, v58, 2.0, -v23
	v_fmamk_f16 v42, v17, 0x361f, v60
	v_fmamk_f16 v43, v23, 0x361f, v61
	;; [unrolled: 1-line block ×6, first 2 shown]
	v_fma_f16 v29, v12, 2.0, -v41
	v_fma_f16 v30, v30, 2.0, -v38
	;; [unrolled: 1-line block ×3, first 2 shown]
	v_fmamk_f16 v13, v18, 0xbb64, v36
	v_fmamk_f16 v21, v25, 0xbb64, v37
	v_fmac_f16_e32 v42, 0x3b64, v23
	v_fmac_f16_e32 v43, 0xbb64, v17
	;; [unrolled: 1-line block ×6, first 2 shown]
	v_sub_f16_e32 v12, v29, v12
	v_sub_f16_e32 v24, v30, v15
	v_fmac_f16_e32 v13, 0x361f, v25
	v_fmac_f16_e32 v21, 0xb61f, v18
	v_fma_f16 v15, v60, 2.0, -v42
	v_fma_f16 v23, v61, 2.0, -v43
	;; [unrolled: 1-line block ×6, first 2 shown]
	s_barrier
	buffer_gl0_inv
	s_and_saveexec_b32 s1, vcc_lo
	s_cbranch_execz .LBB0_17
; %bb.16:
	v_fma_f16 v26, v26, 2.0, -v52
	v_fma_f16 v40, v40, 2.0, -v57
	;; [unrolled: 1-line block ×8, first 2 shown]
	v_fmamk_f16 v45, v39, 0xb61f, v26
	v_fmamk_f16 v47, v40, 0xb61f, v20
	v_sub_f16_e32 v48, v38, v48
	v_fmamk_f16 v51, v27, 0xb9a8, v19
	v_fmamk_f16 v52, v28, 0xb9a8, v14
	v_fmac_f16_e32 v45, 0x3b64, v40
	v_fmac_f16_e32 v47, 0xbb64, v39
	v_add_f16_e32 v55, v55, v41
	v_fmac_f16_e32 v51, 0x39a8, v28
	v_fmac_f16_e32 v52, 0xb9a8, v27
	v_fma_f16 v40, v38, 2.0, -v48
	v_fma_f16 v26, v26, 2.0, -v45
	;; [unrolled: 1-line block ×5, first 2 shown]
	v_mov_b32_e32 v27, 2
	v_fma_f16 v36, v36, 2.0, -v13
	v_fma_f16 v37, v37, 2.0, -v21
	;; [unrolled: 1-line block ×5, first 2 shown]
	v_lshlrev_b32_sdwa v34, v27, v34 dst_sel:DWORD dst_unused:UNUSED_PAD src0_sel:DWORD src1_sel:WORD_0
	v_pack_b32_f16 v29, v26, v20
	v_pack_b32_f16 v28, v19, v14
	v_pack_b32_f16 v27, v36, v37
	v_pack_b32_f16 v26, v38, v30
	v_perm_b32 v39, v22, v18, 0x5040100
	v_perm_b32 v38, v25, v17, 0x5040100
	;; [unrolled: 1-line block ×3, first 2 shown]
	v_pack_b32_f16 v36, v41, v40
	v_pack_b32_f16 v54, v45, v47
	;; [unrolled: 1-line block ×3, first 2 shown]
	v_perm_b32 v52, v21, v13, 0x5040100
	v_perm_b32 v51, v24, v12, 0x5040100
	;; [unrolled: 1-line block ×5, first 2 shown]
	v_pack_b32_f16 v42, v55, v48
	ds_write_b128 v34, v[26:29]
	ds_write_b128 v34, v[36:39] offset:16
	ds_write_b128 v34, v[51:54] offset:32
	;; [unrolled: 1-line block ×3, first 2 shown]
.LBB0_17:
	s_or_b32 exec_lo, exec_lo, s1
	s_waitcnt lgkmcnt(0)
	s_barrier
	buffer_gl0_inv
	ds_read2_b32 v[19:20], v31 offset1:160
	v_add_nc_u32_e32 v27, 0x400, v31
	ds_read_b32 v14, v31 offset:2560
	ds_read2_b32 v[28:29], v27 offset0:64 offset1:224
	s_waitcnt lgkmcnt(0)
	s_barrier
	buffer_gl0_inv
	v_lshrrev_b32_e32 v30, 16, v20
	v_mul_f16_sdwa v36, v0, v20 dst_sel:DWORD dst_unused:UNUSED_PAD src0_sel:WORD_1 src1_sel:DWORD
	v_lshrrev_b32_e32 v26, 16, v19
	v_lshrrev_b32_e32 v34, 16, v14
	v_mul_f16_sdwa v37, v3, v14 dst_sel:DWORD dst_unused:UNUSED_PAD src0_sel:WORD_1 src1_sel:DWORD
	v_lshrrev_b32_e32 v38, 16, v28
	v_lshrrev_b32_e32 v39, 16, v29
	v_mul_f16_sdwa v40, v0, v30 dst_sel:DWORD dst_unused:UNUSED_PAD src0_sel:WORD_1 src1_sel:DWORD
	v_fma_f16 v36, v0, v30, -v36
	v_mul_f16_sdwa v30, v1, v28 dst_sel:DWORD dst_unused:UNUSED_PAD src0_sel:WORD_1 src1_sel:DWORD
	v_mul_f16_sdwa v42, v3, v34 dst_sel:DWORD dst_unused:UNUSED_PAD src0_sel:WORD_1 src1_sel:DWORD
	v_fma_f16 v34, v3, v34, -v37
	v_fmac_f16_e32 v40, v0, v20
	v_mul_f16_sdwa v20, v1, v38 dst_sel:DWORD dst_unused:UNUSED_PAD src0_sel:WORD_1 src1_sel:DWORD
	v_fma_f16 v37, v1, v38, -v30
	v_mul_f16_sdwa v30, v2, v39 dst_sel:DWORD dst_unused:UNUSED_PAD src0_sel:WORD_1 src1_sel:DWORD
	v_mul_f16_sdwa v41, v2, v29 dst_sel:DWORD dst_unused:UNUSED_PAD src0_sel:WORD_1 src1_sel:DWORD
	v_fmac_f16_e32 v42, v3, v14
	v_fmac_f16_e32 v20, v1, v28
	v_add_f16_e32 v0, v26, v36
	v_fmac_f16_e32 v30, v2, v29
	v_fma_f16 v38, v2, v39, -v41
	v_add_f16_e32 v2, v40, v42
	v_add_f16_e32 v1, v19, v40
	v_sub_f16_e32 v3, v36, v34
	v_add_f16_e32 v14, v20, v30
	v_sub_f16_e32 v41, v37, v38
	v_add_f16_e32 v43, v0, v37
	v_add_f16_e32 v0, v37, v38
	v_sub_f16_e32 v44, v40, v42
	v_fma_f16 v14, -0.5, v14, v19
	v_fmac_f16_e32 v19, -0.5, v2
	v_sub_f16_e32 v28, v40, v20
	v_sub_f16_e32 v40, v20, v40
	;; [unrolled: 1-line block ×3, first 2 shown]
	v_add_f16_e32 v39, v36, v34
	v_fmamk_f16 v2, v41, 0x3b9c, v19
	v_fmac_f16_e32 v19, 0xbb9c, v41
	v_add_f16_e32 v1, v1, v20
	v_sub_f16_e32 v45, v42, v30
	v_fma_f16 v29, -0.5, v0, v26
	v_add_f16_e32 v40, v40, v46
	v_fmac_f16_e32 v2, 0xb8b4, v3
	v_fmac_f16_e32 v19, 0x38b4, v3
	v_add_f16_e32 v0, v1, v30
	v_fmamk_f16 v1, v3, 0xbb9c, v14
	v_fmac_f16_e32 v14, 0x3b9c, v3
	v_sub_f16_e32 v3, v20, v30
	v_fmac_f16_e32 v26, -0.5, v39
	v_add_f16_e32 v45, v28, v45
	v_fmamk_f16 v28, v44, 0x3b9c, v29
	v_fmac_f16_e32 v2, 0x34f2, v40
	v_fmac_f16_e32 v19, 0x34f2, v40
	v_sub_f16_e32 v39, v36, v37
	v_sub_f16_e32 v40, v34, v38
	v_fmac_f16_e32 v29, 0xbb9c, v44
	v_fmamk_f16 v30, v3, 0xbb9c, v26
	v_sub_f16_e32 v36, v37, v36
	v_sub_f16_e32 v37, v38, v34
	v_fmac_f16_e32 v26, 0x3b9c, v3
	v_fmac_f16_e32 v1, 0xb8b4, v41
	v_add_f16_e32 v20, v43, v38
	v_fmac_f16_e32 v28, 0x38b4, v3
	v_add_f16_e32 v38, v39, v40
	v_fmac_f16_e32 v29, 0xb8b4, v3
	v_fmac_f16_e32 v30, 0x38b4, v44
	v_add_f16_e32 v3, v36, v37
	v_fmac_f16_e32 v26, 0xb8b4, v44
	v_fmac_f16_e32 v14, 0x38b4, v41
	v_add_f16_e32 v0, v0, v42
	v_fmac_f16_e32 v1, 0x34f2, v45
	v_add_f16_e32 v20, v20, v34
	v_fmac_f16_e32 v28, 0x34f2, v38
	v_fmac_f16_e32 v30, 0x34f2, v3
	;; [unrolled: 1-line block ×5, first 2 shown]
	v_pack_b32_f16 v3, v0, v20
	v_pack_b32_f16 v34, v1, v28
	v_pack_b32_f16 v36, v2, v30
	v_pack_b32_f16 v37, v19, v26
	v_pack_b32_f16 v38, v14, v29
	ds_write2_b32 v33, v3, v34 offset1:16
	ds_write2_b32 v33, v36, v37 offset0:32 offset1:48
	ds_write_b32 v33, v38 offset:256
	s_waitcnt lgkmcnt(0)
	s_barrier
	buffer_gl0_inv
	s_and_saveexec_b32 s1, s0
	s_cbranch_execz .LBB0_19
; %bb.18:
	v_add_nc_u32_e32 v12, 0x600, v31
	v_add_nc_u32_e32 v13, 0x800, v31
	ds_read2_b32 v[0:1], v31 offset1:80
	ds_read2_b32 v[2:3], v31 offset0:160 offset1:240
	ds_read2_b32 v[14:15], v27 offset0:64 offset1:144
	;; [unrolled: 1-line block ×4, first 2 shown]
	s_waitcnt lgkmcnt(4)
	v_lshrrev_b32_e32 v20, 16, v0
	v_lshrrev_b32_e32 v28, 16, v1
	s_waitcnt lgkmcnt(3)
	v_lshrrev_b32_e32 v30, 16, v2
	v_lshrrev_b32_e32 v26, 16, v3
	;; [unrolled: 3-line block ×5, first 2 shown]
	v_mov_b32_e32 v19, v3
.LBB0_19:
	s_or_b32 exec_lo, exec_lo, s1
	s_and_saveexec_b32 s1, s0
	s_cbranch_execz .LBB0_21
; %bb.20:
	v_mul_f16_sdwa v3, v7, v14 dst_sel:DWORD dst_unused:UNUSED_PAD src0_sel:WORD_1 src1_sel:DWORD
	v_mul_f16_sdwa v27, v9, v17 dst_sel:DWORD dst_unused:UNUSED_PAD src0_sel:WORD_1 src1_sel:DWORD
	;; [unrolled: 1-line block ×5, first 2 shown]
	v_fma_f16 v3, v7, v29, -v3
	v_fma_f16 v27, v9, v25, -v27
	v_mul_f16_sdwa v36, v5, v30 dst_sel:DWORD dst_unused:UNUSED_PAD src0_sel:WORD_1 src1_sel:DWORD
	v_fma_f16 v30, v5, v30, -v33
	v_fmac_f16_e32 v37, v11, v12
	v_mul_f16_sdwa v12, v7, v29 dst_sel:DWORD dst_unused:UNUSED_PAD src0_sel:WORD_1 src1_sel:DWORD
	v_add_f16_e32 v33, v27, v3
	v_mul_f16_sdwa v25, v9, v25 dst_sel:DWORD dst_unused:UNUSED_PAD src0_sel:WORD_1 src1_sel:DWORD
	v_fma_f16 v24, v11, v24, -v34
	v_mul_f16_sdwa v34, v8, v23 dst_sel:DWORD dst_unused:UNUSED_PAD src0_sel:WORD_1 src1_sel:DWORD
	v_fmac_f16_e32 v12, v7, v14
	v_fma_f16 v11, -0.5, v33, v20
	v_mul_f16_sdwa v33, v6, v26 dst_sel:DWORD dst_unused:UNUSED_PAD src0_sel:WORD_1 src1_sel:DWORD
	v_fmac_f16_e32 v25, v9, v17
	v_mul_f16_sdwa v7, v35, v21 dst_sel:DWORD dst_unused:UNUSED_PAD src0_sel:WORD_1 src1_sel:DWORD
	v_mul_f16_sdwa v14, v8, v15 dst_sel:DWORD dst_unused:UNUSED_PAD src0_sel:WORD_1 src1_sel:DWORD
	;; [unrolled: 1-line block ×3, first 2 shown]
	v_fmac_f16_e32 v33, v6, v19
	v_fmac_f16_e32 v34, v8, v15
	v_mul_f16_sdwa v9, v10, v22 dst_sel:DWORD dst_unused:UNUSED_PAD src0_sel:WORD_1 src1_sel:DWORD
	v_fmac_f16_e32 v7, v35, v13
	v_mul_f16_sdwa v15, v10, v18 dst_sel:DWORD dst_unused:UNUSED_PAD src0_sel:WORD_1 src1_sel:DWORD
	v_fma_f16 v8, v8, v23, -v14
	v_mul_f16_sdwa v14, v4, v1 dst_sel:DWORD dst_unused:UNUSED_PAD src0_sel:WORD_1 src1_sel:DWORD
	v_fmac_f16_e32 v17, v4, v1
	v_mul_f16_sdwa v1, v6, v19 dst_sel:DWORD dst_unused:UNUSED_PAD src0_sel:WORD_1 src1_sel:DWORD
	v_mul_f16_sdwa v13, v35, v13 dst_sel:DWORD dst_unused:UNUSED_PAD src0_sel:WORD_1 src1_sel:DWORD
	v_fmac_f16_e32 v9, v10, v18
	v_fma_f16 v10, v10, v22, -v15
	v_fma_f16 v4, v4, v28, -v14
	;; [unrolled: 1-line block ×4, first 2 shown]
	v_add_f16_e32 v43, v7, v33
	v_add_f16_e32 v14, v10, v8
	;; [unrolled: 1-line block ×3, first 2 shown]
	v_sub_f16_e32 v21, v1, v8
	v_sub_f16_e32 v19, v1, v6
	;; [unrolled: 1-line block ×3, first 2 shown]
	v_add_f16_e32 v42, v6, v1
	v_fma_f16 v43, -0.5, v43, v17
	v_sub_f16_e32 v47, v8, v1
	v_add_f16_e32 v1, v1, v4
	v_fmac_f16_e32 v36, v5, v2
	v_fma_f16 v14, -0.5, v14, v4
	v_sub_f16_e32 v18, v33, v7
	v_fma_f16 v15, -0.5, v15, v17
	v_fmamk_f16 v50, v38, 0xbb9c, v43
	v_fmac_f16_e32 v43, 0x3b9c, v38
	v_add_f16_e32 v1, v8, v1
	v_sub_f16_e32 v29, v36, v37
	v_sub_f16_e32 v22, v6, v10
	v_fmamk_f16 v23, v18, 0xbb9c, v14
	v_sub_f16_e32 v26, v34, v9
	v_fmamk_f16 v35, v19, 0x3b9c, v15
	v_add_f16_e32 v40, v24, v30
	v_fmac_f16_e32 v50, 0x38b4, v19
	v_fmac_f16_e32 v43, 0xb8b4, v19
	;; [unrolled: 1-line block ×4, first 2 shown]
	v_add_f16_e32 v19, v30, v20
	v_add_f16_e32 v1, v10, v1
	v_fma_f16 v42, -0.5, v42, v4
	v_sub_f16_e32 v2, v30, v3
	v_sub_f16_e32 v5, v24, v27
	v_add_f16_e32 v21, v22, v21
	v_fmac_f16_e32 v23, 0xb8b4, v26
	v_fmamk_f16 v22, v29, 0xbb9c, v11
	v_sub_f16_e32 v39, v12, v25
	v_fma_f16 v40, -0.5, v40, v20
	v_sub_f16_e32 v48, v10, v6
	v_fmac_f16_e32 v14, 0x38b4, v26
	v_fmac_f16_e32 v11, 0x3b9c, v29
	v_add_f16_e32 v4, v3, v19
	v_add_f16_e32 v1, v6, v1
	;; [unrolled: 1-line block ×4, first 2 shown]
	v_sub_f16_e32 v45, v34, v33
	v_sub_f16_e32 v46, v9, v7
	v_fmamk_f16 v49, v26, 0x3b9c, v42
	v_fmac_f16_e32 v42, 0xbb9c, v26
	v_sub_f16_e32 v13, v33, v34
	v_sub_f16_e32 v28, v7, v9
	v_fmac_f16_e32 v23, 0x34f2, v21
	v_add_f16_e32 v2, v5, v2
	v_fmac_f16_e32 v22, 0xb8b4, v39
	v_fmamk_f16 v51, v39, 0x3b9c, v40
	v_fmac_f16_e32 v40, 0xbb9c, v39
	v_fmac_f16_e32 v14, 0x34f2, v21
	;; [unrolled: 1-line block ×3, first 2 shown]
	v_add_f16_e32 v4, v27, v4
	v_fma_f16 v6, -0.5, v6, v0
	v_sub_f16_e32 v21, v30, v24
	v_fma_f16 v20, -0.5, v20, v0
	v_add_f16_e32 v0, v36, v0
	v_add_f16_e32 v17, v33, v17
	v_sub_f16_e32 v41, v3, v30
	v_add_f16_e32 v45, v46, v45
	v_add_f16_e32 v46, v48, v47
	v_fmac_f16_e32 v49, 0xb8b4, v18
	v_fmac_f16_e32 v42, 0x38b4, v18
	v_sub_f16_e32 v3, v3, v27
	v_add_f16_e32 v13, v28, v13
	v_fmac_f16_e32 v22, 0x34f2, v2
	v_sub_f16_e32 v44, v27, v24
	v_fmac_f16_e32 v51, 0xb8b4, v29
	v_fmac_f16_e32 v40, 0x38b4, v29
	;; [unrolled: 1-line block ×4, first 2 shown]
	v_add_f16_e32 v2, v24, v4
	v_sub_f16_e32 v24, v36, v12
	v_sub_f16_e32 v26, v37, v25
	v_fmamk_f16 v27, v21, 0x3b9c, v6
	v_sub_f16_e32 v29, v12, v36
	v_fmac_f16_e32 v6, 0xbb9c, v21
	v_add_f16_e32 v0, v12, v0
	v_add_f16_e32 v12, v34, v17
	v_fmac_f16_e32 v35, 0x38b4, v38
	v_fmac_f16_e32 v49, 0x34f2, v46
	;; [unrolled: 1-line block ×3, first 2 shown]
	v_sub_f16_e32 v30, v25, v37
	v_fmamk_f16 v38, v3, 0xbb9c, v20
	v_fmac_f16_e32 v20, 0x3b9c, v3
	v_fmac_f16_e32 v15, 0x34f2, v13
	v_mul_f16_e32 v8, 0x3a79, v14
	v_add_f16_e32 v24, v26, v24
	v_fmac_f16_e32 v27, 0x38b4, v3
	v_fmac_f16_e32 v6, 0xb8b4, v3
	v_mul_f16_e32 v3, 0xb8b4, v14
	v_add_f16_e32 v0, v25, v0
	v_add_f16_e32 v9, v9, v12
	v_fmac_f16_e32 v35, 0x34f2, v13
	v_mul_f16_e32 v5, 0xba79, v23
	v_add_f16_e32 v41, v44, v41
	v_fmac_f16_e32 v50, 0x34f2, v45
	v_mul_f16_e32 v44, 0xb4f2, v49
	v_fmac_f16_e32 v43, 0x34f2, v45
	v_mul_f16_e32 v18, 0x34f2, v42
	v_add_f16_e32 v26, v30, v29
	v_fmac_f16_e32 v38, 0x38b4, v21
	v_mul_f16_e32 v29, 0xbb9c, v49
	v_fmac_f16_e32 v20, 0xb8b4, v21
	v_mul_f16_e32 v17, 0xbb9c, v42
	v_mul_f16_e32 v23, 0xb8b4, v23
	v_fmac_f16_e32 v8, 0x38b4, v15
	v_fmac_f16_e32 v6, 0x34f2, v24
	;; [unrolled: 1-line block ×3, first 2 shown]
	v_add_f16_e32 v0, v37, v0
	v_add_f16_e32 v7, v7, v9
	v_fmac_f16_e32 v5, 0x38b4, v35
	v_fmac_f16_e32 v51, 0x34f2, v41
	;; [unrolled: 1-line block ×11, first 2 shown]
	v_sub_f16_e32 v13, v11, v8
	v_sub_f16_e32 v19, v2, v1
	;; [unrolled: 1-line block ×3, first 2 shown]
	v_add_f16_e32 v8, v11, v8
	v_add_f16_e32 v1, v2, v1
	;; [unrolled: 1-line block ×4, first 2 shown]
	v_sub_f16_e32 v28, v22, v5
	v_sub_f16_e32 v10, v40, v18
	;; [unrolled: 1-line block ×3, first 2 shown]
	v_add_f16_e32 v5, v22, v5
	v_add_f16_e32 v22, v51, v44
	;; [unrolled: 1-line block ×6, first 2 shown]
	v_sub_f16_e32 v14, v20, v17
	v_sub_f16_e32 v4, v51, v44
	;; [unrolled: 1-line block ×4, first 2 shown]
	v_pack_b32_f16 v0, v0, v1
	v_pack_b32_f16 v1, v2, v8
	;; [unrolled: 1-line block ×6, first 2 shown]
	v_add_nc_u32_e32 v7, 0x400, v31
	v_pack_b32_f16 v8, v15, v13
	v_pack_b32_f16 v10, v14, v10
	v_add_nc_u32_e32 v11, 0x600, v31
	v_pack_b32_f16 v4, v12, v4
	v_pack_b32_f16 v9, v9, v28
	v_add_nc_u32_e32 v12, 0x800, v31
	ds_write2_b32 v31, v0, v1 offset1:80
	ds_write2_b32 v31, v2, v3 offset0:160 offset1:240
	ds_write2_b32 v7, v5, v6 offset0:64 offset1:144
	;; [unrolled: 1-line block ×4, first 2 shown]
.LBB0_21:
	s_or_b32 exec_lo, exec_lo, s1
	s_waitcnt lgkmcnt(0)
	s_barrier
	buffer_gl0_inv
	s_and_b32 exec_lo, exec_lo, vcc_lo
	s_cbranch_execz .LBB0_23
; %bb.22:
	s_clause 0x5
	global_load_dword v15, v31, s[18:19]
	global_load_dword v17, v31, s[18:19] offset:200
	global_load_dword v20, v31, s[18:19] offset:400
	;; [unrolled: 1-line block ×5, first 2 shown]
	v_mad_u64_u32 v[6:7], null, s6, v16, 0
	v_mad_u64_u32 v[8:9], null, s4, v32, 0
	ds_read_b32 v24, v31
	ds_read2_b32 v[4:5], v31 offset0:50 offset1:100
	ds_read2_b32 v[2:3], v31 offset0:150 offset1:200
	v_add_nc_u32_e32 v0, 0x200, v31
	s_mov_b32 s20, 0x47ae147b
	s_mov_b32 s21, 0x3f547ae1
	v_mad_u64_u32 v[11:12], null, s7, v16, v[7:8]
	v_mad_u64_u32 v[9:10], null, s5, v32, v[9:10]
	ds_read2_b32 v[0:1], v0 offset0:122 offset1:172
	v_add_co_u32 v13, s0, s18, v31
	v_add_co_ci_u32_e64 v14, null, s19, 0, s0
	v_mov_b32_e32 v7, v11
	v_lshlrev_b64 v[8:9], 2, v[8:9]
	s_mul_i32 s0, s5, 0xc8
	s_mul_hi_u32 s23, s4, 0xc8
	s_mul_i32 s22, s4, 0xc8
	v_lshlrev_b64 v[6:7], 2, v[6:7]
	s_waitcnt lgkmcnt(3)
	v_lshrrev_b32_e32 v11, 16, v24
	s_waitcnt lgkmcnt(2)
	v_lshrrev_b32_e32 v25, 16, v4
	v_lshrrev_b32_e32 v26, 16, v5
	s_waitcnt lgkmcnt(1)
	v_lshrrev_b32_e32 v27, 16, v2
	v_lshrrev_b32_e32 v28, 16, v3
	v_add_co_u32 v6, vcc_lo, s12, v6
	v_add_co_ci_u32_e32 v7, vcc_lo, s13, v7, vcc_lo
	s_waitcnt lgkmcnt(0)
	v_lshrrev_b32_e32 v30, 16, v0
	v_add_co_u32 v6, vcc_lo, v6, v8
	v_add_co_ci_u32_e32 v7, vcc_lo, v7, v9, vcc_lo
	s_add_i32 s23, s23, s0
	s_clause 0x3
	global_load_dword v12, v31, s[18:19] offset:1200
	global_load_dword v16, v31, s[18:19] offset:1400
	;; [unrolled: 1-line block ×4, first 2 shown]
	ds_read_b32 v10, v31 offset:3000
	s_waitcnt vmcnt(9)
	v_mul_f16_sdwa v8, v11, v15 dst_sel:DWORD dst_unused:UNUSED_PAD src0_sel:DWORD src1_sel:WORD_1
	v_mul_f16_sdwa v9, v24, v15 dst_sel:DWORD dst_unused:UNUSED_PAD src0_sel:DWORD src1_sel:WORD_1
	s_waitcnt vmcnt(8)
	v_mul_f16_sdwa v29, v25, v17 dst_sel:DWORD dst_unused:UNUSED_PAD src0_sel:DWORD src1_sel:WORD_1
	v_mul_f16_sdwa v32, v4, v17 dst_sel:DWORD dst_unused:UNUSED_PAD src0_sel:DWORD src1_sel:WORD_1
	s_waitcnt vmcnt(7)
	v_mul_f16_sdwa v33, v26, v20 dst_sel:DWORD dst_unused:UNUSED_PAD src0_sel:DWORD src1_sel:WORD_1
	v_fmac_f16_e32 v8, v24, v15
	s_waitcnt vmcnt(6)
	v_mul_f16_sdwa v35, v27, v21 dst_sel:DWORD dst_unused:UNUSED_PAD src0_sel:DWORD src1_sel:WORD_1
	s_waitcnt vmcnt(5)
	v_mul_f16_sdwa v37, v28, v22 dst_sel:DWORD dst_unused:UNUSED_PAD src0_sel:DWORD src1_sel:WORD_1
	v_fma_f16 v9, v15, v11, -v9
	v_fmac_f16_e32 v29, v4, v17
	v_cvt_f32_f16_e32 v4, v8
	v_mul_f16_sdwa v34, v5, v20 dst_sel:DWORD dst_unused:UNUSED_PAD src0_sel:DWORD src1_sel:WORD_1
	v_mul_f16_sdwa v36, v2, v21 dst_sel:DWORD dst_unused:UNUSED_PAD src0_sel:DWORD src1_sel:WORD_1
	;; [unrolled: 1-line block ×3, first 2 shown]
	v_fmac_f16_e32 v33, v5, v20
	v_fmac_f16_e32 v35, v2, v21
	v_cvt_f32_f16_e32 v5, v9
	v_fmac_f16_e32 v37, v3, v22
	v_cvt_f64_f32_e32 v[2:3], v4
	v_fma_f16 v11, v17, v25, -v32
	v_cvt_f32_f16_e32 v8, v29
	v_cvt_f64_f32_e32 v[4:5], v5
	s_waitcnt vmcnt(4)
	v_mul_f16_sdwa v39, v30, v23 dst_sel:DWORD dst_unused:UNUSED_PAD src0_sel:DWORD src1_sel:WORD_1
	v_mul_f16_sdwa v40, v0, v23 dst_sel:DWORD dst_unused:UNUSED_PAD src0_sel:DWORD src1_sel:WORD_1
	v_cvt_f32_f16_e32 v11, v11
	v_cvt_f64_f32_e32 v[8:9], v8
	v_fma_f16 v15, v20, v26, -v34
	v_fma_f16 v17, v21, v27, -v36
	v_fmac_f16_e32 v39, v0, v23
	v_cvt_f32_f16_e32 v0, v33
	v_cvt_f64_f32_e32 v[20:21], v11
	v_cvt_f32_f16_e32 v15, v15
	v_cvt_f32_f16_e32 v11, v35
	v_fma_f16 v22, v22, v28, -v38
	v_cvt_f64_f32_e32 v[24:25], v0
	v_cvt_f32_f16_e32 v17, v17
	v_cvt_f64_f32_e32 v[26:27], v15
	v_cvt_f64_f32_e32 v[28:29], v11
	v_fma_f16 v0, v23, v30, -v40
	v_cvt_f32_f16_e32 v34, v37
	v_mul_f64 v[2:3], v[2:3], s[20:21]
	v_cvt_f64_f32_e32 v[32:33], v17
	v_cvt_f32_f16_e32 v22, v22
	v_mul_f64 v[4:5], v[4:5], s[20:21]
	v_cvt_f32_f16_e32 v0, v0
	v_cvt_f64_f32_e32 v[34:35], v34
	v_cvt_f32_f16_e32 v38, v39
	v_mul_f64 v[8:9], v[8:9], s[20:21]
	v_cvt_f64_f32_e32 v[36:37], v22
	v_add_co_u32 v22, vcc_lo, v6, s22
	v_add_co_ci_u32_e32 v23, vcc_lo, s23, v7, vcc_lo
	v_mul_f64 v[20:21], v[20:21], s[20:21]
	v_cvt_f64_f32_e32 v[42:43], v0
	v_add_co_u32 v40, vcc_lo, v22, s22
	v_mul_f64 v[24:25], v[24:25], s[20:21]
	v_mul_f64 v[26:27], v[26:27], s[20:21]
	v_add_co_ci_u32_e32 v41, vcc_lo, s23, v23, vcc_lo
	v_cvt_f64_f32_e32 v[38:39], v38
	v_and_or_b32 v0, 0x1ff, v3, v2
	v_mul_f64 v[28:29], v[28:29], s[20:21]
	v_mul_f64 v[32:33], v[32:33], s[20:21]
	v_and_or_b32 v4, 0x1ff, v5, v4
	v_lshrrev_b32_e32 v2, 8, v3
	v_cmp_ne_u32_e32 vcc_lo, 0, v0
	v_mul_f64 v[34:35], v[34:35], s[20:21]
	v_and_or_b32 v8, 0x1ff, v9, v8
	v_mul_f64 v[36:37], v[36:37], s[20:21]
	v_bfe_u32 v11, v3, 20, 11
	v_cndmask_b32_e64 v0, 0, 1, vcc_lo
	v_cmp_ne_u32_e32 vcc_lo, 0, v4
	v_lshrrev_b32_e32 v15, 8, v5
	v_and_or_b32 v20, 0x1ff, v21, v20
	v_bfe_u32 v17, v5, 20, 11
	v_and_or_b32 v0, 0xffe, v2, v0
	v_cndmask_b32_e64 v4, 0, 1, vcc_lo
	v_cmp_ne_u32_e32 vcc_lo, 0, v8
	v_and_or_b32 v24, 0x1ff, v25, v24
	v_and_or_b32 v26, 0x1ff, v27, v26
	v_lshrrev_b32_e32 v30, 8, v9
	v_mul_f64 v[38:39], v[38:39], s[20:21]
	v_cndmask_b32_e64 v8, 0, 1, vcc_lo
	v_cmp_ne_u32_e32 vcc_lo, 0, v20
	v_and_or_b32 v28, 0x1ff, v29, v28
	v_and_or_b32 v32, 0x1ff, v33, v32
	v_bfe_u32 v44, v9, 20, 11
	v_bfe_u32 v46, v21, 20, 11
	v_cndmask_b32_e64 v20, 0, 1, vcc_lo
	v_cmp_ne_u32_e32 vcc_lo, 0, v24
	v_and_or_b32 v34, 0x1ff, v35, v34
	v_and_or_b32 v36, 0x1ff, v37, v36
	v_sub_nc_u32_e32 v61, 0x3f1, v11
	v_add_nc_u32_e32 v11, 0xfffffc10, v11
	v_cndmask_b32_e64 v24, 0, 1, vcc_lo
	v_cmp_ne_u32_e32 vcc_lo, 0, v26
	v_sub_nc_u32_e32 v62, 0x3f1, v17
	v_and_or_b32 v4, 0xffe, v15, v4
	v_lshrrev_b32_e32 v45, 8, v21
	v_bfe_u32 v48, v25, 20, 11
	v_cndmask_b32_e64 v26, 0, 1, vcc_lo
	v_cmp_ne_u32_e32 vcc_lo, 0, v28
	v_bfe_u32 v50, v27, 20, 11
	v_and_or_b32 v38, 0x1ff, v39, v38
	v_add_nc_u32_e32 v17, 0xfffffc10, v17
	v_sub_nc_u32_e32 v63, 0x3f1, v44
	v_cndmask_b32_e64 v28, 0, 1, vcc_lo
	v_cmp_ne_u32_e32 vcc_lo, 0, v32
	v_sub_nc_u32_e32 v64, 0x3f1, v46
	v_med3_i32 v2, v61, 0, 13
	v_med3_i32 v15, v62, 0, 13
	v_and_or_b32 v8, 0xffe, v30, v8
	v_cndmask_b32_e64 v32, 0, 1, vcc_lo
	v_cmp_ne_u32_e32 vcc_lo, 0, v34
	v_or_b32_e32 v61, 0x1000, v0
	v_lshl_or_b32 v62, v11, 12, v0
	v_lshrrev_b32_e32 v47, 8, v25
	v_lshrrev_b32_e32 v49, 8, v27
	v_cndmask_b32_e64 v34, 0, 1, vcc_lo
	v_cmp_ne_u32_e32 vcc_lo, 0, v36
	v_bfe_u32 v52, v29, 20, 11
	v_bfe_u32 v54, v33, 20, 11
	v_add_nc_u32_e32 v44, 0xfffffc10, v44
	v_sub_nc_u32_e32 v65, 0x3f1, v48
	v_cndmask_b32_e64 v36, 0, 1, vcc_lo
	v_cmp_ne_u32_e32 vcc_lo, 0, v38
	v_sub_nc_u32_e32 v66, 0x3f1, v50
	v_med3_i32 v30, v63, 0, 13
	v_and_or_b32 v20, 0xffe, v45, v20
	v_med3_i32 v45, v64, 0, 13
	v_cndmask_b32_e64 v38, 0, 1, vcc_lo
	v_cmp_ne_u32_e32 vcc_lo, 0, v0
	v_or_b32_e32 v63, 0x1000, v4
	v_lshl_or_b32 v64, v17, 12, v4
	v_lshrrev_b32_e32 v51, 8, v29
	v_lshrrev_b32_e32 v53, 8, v33
	v_cndmask_b32_e64 v0, 0, 1, vcc_lo
	v_cmp_ne_u32_e32 vcc_lo, 0, v4
	v_bfe_u32 v56, v35, 20, 11
	v_bfe_u32 v58, v37, 20, 11
	v_add_nc_u32_e32 v46, 0xfffffc10, v46
	v_sub_nc_u32_e32 v67, 0x3f1, v52
	v_cndmask_b32_e64 v4, 0, 1, vcc_lo
	v_cmp_ne_u32_e32 vcc_lo, 0, v8
	v_sub_nc_u32_e32 v68, 0x3f1, v54
	v_and_or_b32 v24, 0xffe, v47, v24
	v_med3_i32 v47, v65, 0, 13
	v_and_or_b32 v26, 0xffe, v49, v26
	v_med3_i32 v49, v66, 0, 13
	v_or_b32_e32 v65, 0x1000, v8
	v_lshl_or_b32 v66, v44, 12, v8
	v_cndmask_b32_e64 v8, 0, 1, vcc_lo
	v_cmp_ne_u32_e32 vcc_lo, 0, v20
	v_lshrrev_b32_e32 v55, 8, v35
	v_lshrrev_b32_e32 v57, 8, v37
	v_bfe_u32 v60, v39, 20, 11
	v_add_nc_u32_e32 v48, 0xfffffc10, v48
	v_sub_nc_u32_e32 v69, 0x3f1, v56
	v_sub_nc_u32_e32 v70, 0x3f1, v58
	v_and_or_b32 v28, 0xffe, v51, v28
	v_med3_i32 v51, v67, 0, 13
	v_and_or_b32 v32, 0xffe, v53, v32
	v_med3_i32 v53, v68, 0, 13
	v_or_b32_e32 v67, 0x1000, v20
	v_lshl_or_b32 v68, v46, 12, v20
	v_cndmask_b32_e64 v20, 0, 1, vcc_lo
	v_cmp_ne_u32_e32 vcc_lo, 0, v24
	v_lshrrev_b32_e32 v59, 8, v39
	v_add_nc_u32_e32 v50, 0xfffffc10, v50
	v_sub_nc_u32_e32 v71, 0x3f1, v60
	v_and_or_b32 v34, 0xffe, v55, v34
	v_med3_i32 v55, v69, 0, 13
	v_and_or_b32 v36, 0xffe, v57, v36
	v_med3_i32 v57, v70, 0, 13
	v_or_b32_e32 v69, 0x1000, v24
	v_lshl_or_b32 v70, v48, 12, v24
	v_cndmask_b32_e64 v24, 0, 1, vcc_lo
	v_cmp_ne_u32_e32 vcc_lo, 0, v26
	v_add_nc_u32_e32 v52, 0xfffffc10, v52
	v_and_or_b32 v38, 0xffe, v59, v38
	v_med3_i32 v59, v71, 0, 13
	v_or_b32_e32 v71, 0x1000, v26
	v_lshl_or_b32 v72, v50, 12, v26
	v_cndmask_b32_e64 v26, 0, 1, vcc_lo
	v_cmp_ne_u32_e32 vcc_lo, 0, v28
	v_add_nc_u32_e32 v54, 0xfffffc10, v54
	v_or_b32_e32 v73, 0x1000, v28
	v_lshl_or_b32 v74, v52, 12, v28
	v_lshrrev_b32_e32 v82, v2, v61
	v_cndmask_b32_e64 v28, 0, 1, vcc_lo
	v_cmp_ne_u32_e32 vcc_lo, 0, v32
	v_add_nc_u32_e32 v56, 0xfffffc10, v56
	v_or_b32_e32 v75, 0x1000, v32
	v_lshl_or_b32 v76, v54, 12, v32
	v_lshrrev_b32_e32 v83, v15, v63
	v_cndmask_b32_e64 v32, 0, 1, vcc_lo
	v_cmp_ne_u32_e32 vcc_lo, 0, v34
	v_lshlrev_b32_e32 v2, v2, v82
	v_or_b32_e32 v77, 0x1000, v34
	v_lshl_or_b32 v78, v56, 12, v34
	v_lshrrev_b32_e32 v84, v30, v65
	v_cndmask_b32_e64 v34, 0, 1, vcc_lo
	v_lshlrev_b32_e32 v15, v15, v83
	v_cmp_ne_u32_e32 vcc_lo, v2, v61
	v_lshrrev_b32_e32 v85, v45, v67
	v_lshlrev_b32_e32 v30, v30, v84
	v_lshrrev_b32_e32 v86, v47, v69
	v_lshrrev_b32_e32 v87, v49, v71
	v_cndmask_b32_e64 v2, 0, 1, vcc_lo
	v_cmp_ne_u32_e32 vcc_lo, v15, v63
	v_lshlrev_b32_e32 v45, v45, v85
	v_lshlrev_b32_e32 v47, v47, v86
	v_lshrrev_b32_e32 v88, v51, v73
	v_lshlrev_b32_e32 v49, v49, v87
	v_cndmask_b32_e64 v15, 0, 1, vcc_lo
	v_cmp_ne_u32_e32 vcc_lo, v30, v65
	v_lshrrev_b32_e32 v89, v53, v75
	v_lshlrev_b32_e32 v51, v51, v88
	v_or_b32_e32 v79, 0x1000, v36
	v_lshrrev_b32_e32 v90, v55, v77
	v_cndmask_b32_e64 v30, 0, 1, vcc_lo
	v_cmp_ne_u32_e32 vcc_lo, v45, v67
	v_lshlrev_b32_e32 v53, v53, v89
	v_lshrrev_b32_e32 v91, v57, v79
	v_lshlrev_b32_e32 v55, v55, v90
	v_or_b32_e32 v2, v82, v2
	v_cndmask_b32_e64 v45, 0, 1, vcc_lo
	v_cmp_ne_u32_e32 vcc_lo, v47, v69
	v_lshlrev_b32_e32 v57, v57, v91
	v_or_b32_e32 v15, v83, v15
	v_or_b32_e32 v30, v84, v30
	v_or_b32_e32 v45, v85, v45
	v_cndmask_b32_e64 v47, 0, 1, vcc_lo
	v_cmp_ne_u32_e32 vcc_lo, v49, v71
	v_add_nc_u32_e32 v58, 0xfffffc10, v58
	v_lshl_or_b32 v0, v0, 9, 0x7c00
	v_lshl_or_b32 v4, v4, 9, 0x7c00
	v_or_b32_e32 v47, v86, v47
	v_cndmask_b32_e64 v49, 0, 1, vcc_lo
	v_cmp_ne_u32_e32 vcc_lo, v51, v73
	v_lshl_or_b32 v80, v58, 12, v36
	v_lshl_or_b32 v8, v8, 9, 0x7c00
	;; [unrolled: 1-line block ×3, first 2 shown]
	v_or_b32_e32 v49, v87, v49
	v_cndmask_b32_e64 v51, 0, 1, vcc_lo
	v_cmp_ne_u32_e32 vcc_lo, v53, v75
	v_lshl_or_b32 v24, v24, 9, 0x7c00
	v_lshl_or_b32 v26, v26, 9, 0x7c00
	v_lshrrev_b32_e32 v3, 16, v3
	v_or_b32_e32 v51, v88, v51
	v_cndmask_b32_e64 v53, 0, 1, vcc_lo
	v_cmp_ne_u32_e32 vcc_lo, v55, v77
	v_lshrrev_b32_e32 v5, 16, v5
	v_lshrrev_b32_e32 v9, 16, v9
	;; [unrolled: 1-line block ×3, first 2 shown]
	v_or_b32_e32 v53, v89, v53
	v_cndmask_b32_e64 v55, 0, 1, vcc_lo
	v_cmp_ne_u32_e32 vcc_lo, v57, v79
	v_lshl_or_b32 v28, v28, 9, 0x7c00
	v_lshrrev_b32_e32 v21, 16, v21
	v_lshrrev_b32_e32 v27, 16, v27
	v_or_b32_e32 v55, v90, v55
	v_cndmask_b32_e64 v57, 0, 1, vcc_lo
	v_cmp_gt_i32_e32 vcc_lo, 1, v11
	v_lshl_or_b32 v32, v32, 9, 0x7c00
	v_lshl_or_b32 v34, v34, 9, 0x7c00
	v_lshrrev_b32_e32 v29, 16, v29
	v_or_b32_e32 v57, v91, v57
	v_cndmask_b32_e32 v2, v62, v2, vcc_lo
	v_cmp_gt_i32_e32 vcc_lo, 1, v17
	v_lshrrev_b32_e32 v33, 16, v33
	v_or_b32_e32 v81, 0x1000, v38
	v_and_b32_e32 v61, 7, v2
	v_cndmask_b32_e32 v15, v64, v15, vcc_lo
	v_cmp_gt_i32_e32 vcc_lo, 1, v44
	v_lshrrev_b32_e32 v2, 2, v2
	v_cmp_eq_u32_e64 s0, 3, v61
	v_and_b32_e32 v62, 7, v15
	v_cndmask_b32_e32 v30, v66, v30, vcc_lo
	v_cmp_gt_i32_e32 vcc_lo, 1, v46
	v_lshrrev_b32_e32 v15, 2, v15
	v_cmp_lt_i32_e64 s1, 5, v62
	v_and_b32_e32 v63, 7, v30
	v_cndmask_b32_e32 v45, v68, v45, vcc_lo
	v_cmp_gt_i32_e32 vcc_lo, 1, v48
	v_cmp_eq_u32_e64 s2, 3, v62
	v_lshrrev_b32_e32 v30, 2, v30
	v_cmp_lt_i32_e64 s3, 5, v63
	v_and_b32_e32 v64, 7, v45
	v_cndmask_b32_e32 v47, v70, v47, vcc_lo
	v_cmp_gt_i32_e32 vcc_lo, 1, v50
	v_cmp_eq_u32_e64 s4, 3, v63
	;; [unrolled: 6-line block ×6, first 2 shown]
	v_lshrrev_b32_e32 v53, 2, v53
	v_cmp_lt_i32_e64 s13, 5, v68
	v_and_b32_e32 v69, 7, v55
	v_cndmask_b32_e32 v57, v80, v57, vcc_lo
	v_cmp_lt_i32_e32 vcc_lo, 5, v61
	v_cmp_eq_u32_e64 s14, 3, v68
	v_lshrrev_b32_e32 v55, 2, v55
	v_cmp_lt_i32_e64 s15, 5, v69
	v_cmp_eq_u32_e64 s16, 3, v69
	s_or_b32 vcc_lo, s0, vcc_lo
	v_and_b32_e32 v70, 7, v57
	v_add_co_ci_u32_e32 v2, vcc_lo, 0, v2, vcc_lo
	s_or_b32 vcc_lo, s2, s1
	v_add_co_ci_u32_e32 v15, vcc_lo, 0, v15, vcc_lo
	s_or_b32 vcc_lo, s4, s3
	v_cmp_lt_i32_e64 s17, 5, v70
	v_add_co_ci_u32_e32 v30, vcc_lo, 0, v30, vcc_lo
	s_or_b32 vcc_lo, s6, s5
	v_add_co_ci_u32_e32 v45, vcc_lo, 0, v45, vcc_lo
	s_or_b32 vcc_lo, s8, s7
	;; [unrolled: 2-line block ×6, first 2 shown]
	v_add_co_ci_u32_e32 v55, vcc_lo, 0, v55, vcc_lo
	v_cmp_gt_i32_e32 vcc_lo, 31, v11
	v_cndmask_b32_e32 v2, 0x7c00, v2, vcc_lo
	v_cmp_gt_i32_e32 vcc_lo, 31, v17
	v_cndmask_b32_e32 v15, 0x7c00, v15, vcc_lo
	v_cmp_gt_i32_e32 vcc_lo, 31, v44
	v_cndmask_b32_e32 v30, 0x7c00, v30, vcc_lo
	v_cmp_gt_i32_e32 vcc_lo, 31, v46
	v_cndmask_b32_e32 v45, 0x7c00, v45, vcc_lo
	v_cmp_gt_i32_e32 vcc_lo, 31, v48
	v_cndmask_b32_e32 v47, 0x7c00, v47, vcc_lo
	v_cmp_gt_i32_e32 vcc_lo, 31, v50
	v_cndmask_b32_e32 v49, 0x7c00, v49, vcc_lo
	v_cmp_gt_i32_e32 vcc_lo, 31, v52
	v_cndmask_b32_e32 v51, 0x7c00, v51, vcc_lo
	v_cmp_gt_i32_e32 vcc_lo, 31, v54
	v_cndmask_b32_e32 v53, 0x7c00, v53, vcc_lo
	v_cmp_gt_i32_e32 vcc_lo, 31, v56
	v_cndmask_b32_e32 v55, 0x7c00, v55, vcc_lo
	v_cmp_eq_u32_e32 vcc_lo, 0x40f, v11
	v_cndmask_b32_e32 v0, v2, v0, vcc_lo
	v_cmp_eq_u32_e32 vcc_lo, 0x40f, v17
	v_and_or_b32 v0, 0x8000, v3, v0
	v_cndmask_b32_e32 v2, v15, v4, vcc_lo
	v_cmp_eq_u32_e32 vcc_lo, 0x40f, v44
	v_and_b32_e32 v0, 0xffff, v0
	v_and_or_b32 v2, 0x8000, v5, v2
	v_cndmask_b32_e32 v4, v30, v8, vcc_lo
	v_cmp_eq_u32_e32 vcc_lo, 0x40f, v46
	v_lshl_or_b32 v0, v2, 16, v0
	v_and_or_b32 v3, 0x8000, v9, v4
	v_cndmask_b32_e32 v8, v45, v20, vcc_lo
	v_cmp_eq_u32_e32 vcc_lo, 0x40f, v48
	v_and_b32_e32 v3, 0xffff, v3
	v_and_or_b32 v4, 0x8000, v21, v8
	v_cndmask_b32_e32 v11, v47, v24, vcc_lo
	v_cmp_eq_u32_e32 vcc_lo, 0x40f, v50
	v_lshl_or_b32 v2, v4, 16, v3
	v_and_or_b32 v5, 0x8000, v25, v11
	v_cndmask_b32_e32 v15, v49, v26, vcc_lo
	v_cmp_eq_u32_e32 vcc_lo, 0x40f, v52
	v_lshrrev_b32_e32 v4, 2, v57
	v_and_b32_e32 v5, 0xffff, v5
	v_and_or_b32 v8, 0x8000, v27, v15
	v_cndmask_b32_e32 v17, v51, v28, vcc_lo
	v_cmp_eq_u32_e32 vcc_lo, 0x40f, v54
	v_lshl_or_b32 v3, v8, 16, v5
	v_and_or_b32 v9, 0x8000, v29, v17
	v_cndmask_b32_e32 v20, v53, v32, vcc_lo
	v_cmp_eq_u32_e32 vcc_lo, 0x40f, v56
	global_store_dword v[6:7], v0, off
	global_store_dword v[22:23], v2, off
	;; [unrolled: 1-line block ×3, first 2 shown]
	v_mul_f64 v[2:3], v[42:43], s[20:21]
	v_and_b32_e32 v9, 0xffff, v9
	v_and_or_b32 v11, 0x8000, v33, v20
	v_cndmask_b32_e32 v8, v55, v34, vcc_lo
	v_cmp_eq_u32_e32 vcc_lo, 3, v70
	v_lshrrev_b32_e32 v6, v59, v81
	v_lshrrev_b32_e32 v0, 16, v35
	v_lshl_or_b32 v15, v11, 16, v9
	v_add_nc_u32_e32 v17, 0xfffffc10, v60
	s_or_b32 vcc_lo, vcc_lo, s17
	v_lshlrev_b32_e32 v9, v59, v6
	v_add_co_ci_u32_e32 v7, vcc_lo, 0, v4, vcc_lo
	v_add_co_u32 v4, vcc_lo, v40, s22
	v_add_co_ci_u32_e32 v5, vcc_lo, s23, v41, vcc_lo
	v_cmp_gt_i32_e32 vcc_lo, 31, v58
	v_and_or_b32 v0, 0x8000, v0, v8
	global_load_dword v20, v31, s[18:19] offset:2000
	v_cndmask_b32_e32 v7, 0x7c00, v7, vcc_lo
	v_cmp_ne_u32_e32 vcc_lo, v9, v81
	v_lshrrev_b32_e32 v9, 16, v1
	v_and_or_b32 v2, 0x1ff, v3, v2
	v_bfe_u32 v22, v3, 20, 11
	v_and_b32_e32 v0, 0xffff, v0
	v_cndmask_b32_e64 v8, 0, 1, vcc_lo
	v_cmp_ne_u32_e32 vcc_lo, 0, v36
	s_waitcnt vmcnt(4)
	v_mul_f16_sdwa v21, v9, v12 dst_sel:DWORD dst_unused:UNUSED_PAD src0_sel:DWORD src1_sel:WORD_1
	v_or_b32_e32 v6, v6, v8
	v_cndmask_b32_e64 v11, 0, 1, vcc_lo
	v_lshl_or_b32 v8, v17, 12, v38
	v_cmp_gt_i32_e32 vcc_lo, 1, v17
	v_fmac_f16_e32 v21, v1, v12
	v_mul_f16_sdwa v1, v1, v12 dst_sel:DWORD dst_unused:UNUSED_PAD src0_sel:DWORD src1_sel:WORD_1
	v_lshl_or_b32 v11, v11, 9, 0x7c00
	v_cndmask_b32_e32 v8, v8, v6, vcc_lo
	v_cmp_ne_u32_e32 vcc_lo, 0, v2
	v_lshrrev_b32_e32 v6, 8, v3
	v_cvt_f32_f16_e32 v21, v21
	v_fma_f16 v9, v12, v9, -v1
	v_and_b32_e32 v24, 7, v8
	v_cndmask_b32_e64 v2, 0, 1, vcc_lo
	v_cmp_eq_u32_e32 vcc_lo, 0x40f, v58
	v_lshrrev_b32_e32 v8, 2, v8
	v_lshrrev_b32_e32 v3, 16, v3
	v_cmp_eq_u32_e64 s0, 3, v24
	v_and_or_b32 v23, 0xffe, v6, v2
	v_cndmask_b32_e32 v11, v7, v11, vcc_lo
	v_sub_nc_u32_e32 v2, 0x3f1, v22
	v_cvt_f64_f32_e32 v[6:7], v21
	v_lshrrev_b32_e32 v21, 16, v37
	v_or_b32_e32 v25, 0x1000, v23
	v_cmp_lt_i32_e32 vcc_lo, 5, v24
	v_med3_i32 v2, v2, 0, 13
	v_add_nc_u32_e32 v22, 0xfffffc10, v22
	v_and_or_b32 v11, 0x8000, v21, v11
	s_or_b32 vcc_lo, s0, vcc_lo
	v_lshrrev_b32_e32 v21, v2, v25
	v_add_co_ci_u32_e32 v8, vcc_lo, 0, v8, vcc_lo
	v_cmp_gt_i32_e32 vcc_lo, 31, v17
	v_lshl_or_b32 v0, v11, 16, v0
	v_lshlrev_b32_e32 v2, v2, v21
	v_cndmask_b32_e32 v24, 0x7c00, v8, vcc_lo
	v_cmp_ne_u32_e32 vcc_lo, v2, v25
	v_mul_f64 v[1:2], v[6:7], s[20:21]
	v_cvt_f32_f16_e32 v7, v9
	v_cndmask_b32_e64 v8, 0, 1, vcc_lo
	v_cmp_ne_u32_e32 vcc_lo, 0, v38
	v_lshl_or_b32 v9, v22, 12, v23
	v_or_b32_e32 v8, v21, v8
	v_cndmask_b32_e64 v6, 0, 1, vcc_lo
	v_cmp_gt_i32_e32 vcc_lo, 1, v22
	v_add_nc_u32_e32 v21, 0x400, v31
	v_lshl_or_b32 v25, v6, 9, 0x7c00
	v_cvt_f64_f32_e32 v[6:7], v7
	v_cndmask_b32_e32 v26, v9, v8, vcc_lo
	v_add_co_u32 v11, vcc_lo, v4, s22
	ds_read2_b32 v[8:9], v21 offset0:94 offset1:144
	v_add_co_ci_u32_e32 v12, vcc_lo, s23, v5, vcc_lo
	v_cmp_eq_u32_e32 vcc_lo, 0x40f, v17
	global_store_dword v[4:5], v15, off
	global_store_dword v[11:12], v0, off
	v_and_or_b32 v0, 0x1ff, v2, v1
	v_lshrrev_b32_e32 v1, 2, v26
	v_cndmask_b32_e32 v17, v24, v25, vcc_lo
	v_and_b32_e32 v25, 7, v26
	v_lshrrev_b32_e32 v24, 16, v39
	v_cmp_ne_u32_e64 s1, 0, v0
	v_cmp_lt_i32_e32 vcc_lo, 5, v25
	v_cmp_eq_u32_e64 s0, 3, v25
	v_and_or_b32 v15, 0x8000, v24, v17
	v_cndmask_b32_e64 v0, 0, 1, s1
	v_lshrrev_b32_e32 v17, 8, v2
	v_bfe_u32 v24, v2, 20, 11
	v_mul_f64 v[4:5], v[6:7], s[20:21]
	s_or_b32 vcc_lo, s0, vcc_lo
	s_waitcnt lgkmcnt(0)
	v_lshrrev_b32_e32 v25, 16, v8
	v_and_or_b32 v17, 0xffe, v17, v0
	v_sub_nc_u32_e32 v0, 0x3f1, v24
	v_add_co_ci_u32_e32 v1, vcc_lo, 0, v1, vcc_lo
	v_cmp_ne_u32_e32 vcc_lo, 0, v23
	v_or_b32_e32 v23, 0x1000, v17
	v_med3_i32 v26, v0, 0, 13
	s_waitcnt vmcnt(3)
	v_mul_f16_sdwa v6, v25, v16 dst_sel:DWORD dst_unused:UNUSED_PAD src0_sel:DWORD src1_sel:WORD_1
	v_and_b32_e32 v15, 0xffff, v15
	v_cndmask_b32_e64 v7, 0, 1, vcc_lo
	v_cmp_gt_i32_e32 vcc_lo, 31, v22
	v_lshrrev_b32_e32 v28, v26, v23
	v_fmac_f16_e32 v6, v8, v16
	v_mul_f16_sdwa v8, v8, v16 dst_sel:DWORD dst_unused:UNUSED_PAD src0_sel:DWORD src1_sel:WORD_1
	v_lshl_or_b32 v7, v7, 9, 0x7c00
	v_cndmask_b32_e32 v27, 0x7c00, v1, vcc_lo
	v_add_co_u32 v0, vcc_lo, 0x800, v13
	v_add_co_ci_u32_e32 v1, vcc_lo, 0, v14, vcc_lo
	v_cmp_eq_u32_e32 vcc_lo, 0x40f, v22
	v_lshlrev_b32_e32 v14, v26, v28
	v_cvt_f32_f16_e32 v6, v6
	v_and_or_b32 v4, 0x1ff, v5, v4
	global_load_dword v22, v[0:1], off offset:152
	v_cndmask_b32_e32 v13, v27, v7, vcc_lo
	v_cmp_ne_u32_e32 vcc_lo, v14, v23
	v_cvt_f64_f32_e32 v[6:7], v6
	v_add_nc_u32_e32 v23, 0xfffffc10, v24
	v_lshrrev_b32_e32 v24, 8, v5
	v_bfe_u32 v26, v5, 20, 11
	v_cndmask_b32_e64 v14, 0, 1, vcc_lo
	v_cmp_ne_u32_e32 vcc_lo, 0, v4
	v_and_or_b32 v3, 0x8000, v3, v13
	v_fma_f16 v8, v16, v25, -v8
	v_lshrrev_b32_e32 v2, 16, v2
	v_or_b32_e32 v13, v28, v14
	v_cndmask_b32_e64 v4, 0, 1, vcc_lo
	v_lshl_or_b32 v14, v23, 12, v17
	v_cmp_gt_i32_e32 vcc_lo, 1, v23
	v_lshl_or_b32 v15, v3, 16, v15
	v_cvt_f32_f16_e32 v8, v8
	v_and_or_b32 v24, 0xffe, v24, v4
	v_sub_nc_u32_e32 v4, 0x3f1, v26
	v_cndmask_b32_e32 v13, v14, v13, vcc_lo
	v_lshrrev_b32_e32 v5, 16, v5
	v_or_b32_e32 v14, 0x1000, v24
	v_med3_i32 v27, v4, 0, 13
	v_mul_f64 v[3:4], v[6:7], s[20:21]
	v_and_b32_e32 v28, 7, v13
	v_add_co_u32 v6, vcc_lo, v11, s22
	v_lshrrev_b32_e32 v29, v27, v14
	v_add_co_ci_u32_e32 v7, vcc_lo, s23, v12, vcc_lo
	v_cmp_lt_i32_e32 vcc_lo, 5, v28
	v_cmp_eq_u32_e64 s0, 3, v28
	v_lshlrev_b32_e32 v11, v27, v29
	v_lshrrev_b32_e32 v13, 2, v13
	global_store_dword v[6:7], v15, off
	s_or_b32 vcc_lo, s0, vcc_lo
	v_cmp_ne_u32_e64 s1, v11, v14
	v_add_co_ci_u32_e32 v13, vcc_lo, 0, v13, vcc_lo
	v_cvt_f64_f32_e32 v[11:12], v8
	v_add_nc_u32_e32 v8, 0xfffffc10, v26
	v_cndmask_b32_e64 v14, 0, 1, s1
	v_cmp_ne_u32_e32 vcc_lo, 0, v17
	v_and_or_b32 v3, 0x1ff, v4, v3
	v_lshl_or_b32 v16, v8, 12, v24
	v_or_b32_e32 v14, v29, v14
	v_cndmask_b32_e64 v17, 0, 1, vcc_lo
	v_cmp_gt_i32_e32 vcc_lo, 1, v8
	v_bfe_u32 v25, v4, 20, 11
	v_lshl_or_b32 v17, v17, 9, 0x7c00
	v_cndmask_b32_e32 v14, v16, v14, vcc_lo
	v_cmp_ne_u32_e32 vcc_lo, 0, v3
	v_lshrrev_b32_e32 v16, 8, v4
	v_lshrrev_b32_e32 v4, 16, v4
	v_and_b32_e32 v26, 7, v14
	v_cndmask_b32_e64 v3, 0, 1, vcc_lo
	v_cmp_gt_i32_e32 vcc_lo, 31, v23
	v_mul_f64 v[11:12], v[11:12], s[20:21]
	v_cmp_eq_u32_e64 s0, 3, v26
	v_and_or_b32 v16, 0xffe, v16, v3
	v_cndmask_b32_e32 v13, 0x7c00, v13, vcc_lo
	v_cmp_eq_u32_e32 vcc_lo, 0x40f, v23
	v_sub_nc_u32_e32 v3, 0x3f1, v25
	v_lshrrev_b32_e32 v23, 16, v9
	v_cndmask_b32_e32 v13, v13, v17, vcc_lo
	v_cmp_lt_i32_e32 vcc_lo, 5, v26
	v_or_b32_e32 v17, 0x1000, v16
	v_med3_i32 v3, v3, 0, 13
	s_waitcnt vmcnt(3)
	v_mul_f16_sdwa v26, v23, v18 dst_sel:DWORD dst_unused:UNUSED_PAD src0_sel:DWORD src1_sel:WORD_1
	v_and_or_b32 v13, 0x8000, v2, v13
	v_lshrrev_b32_e32 v2, 2, v14
	s_or_b32 vcc_lo, s0, vcc_lo
	v_lshrrev_b32_e32 v14, v3, v17
	v_fmac_f16_e32 v26, v9, v18
	v_mul_f16_sdwa v9, v9, v18 dst_sel:DWORD dst_unused:UNUSED_PAD src0_sel:DWORD src1_sel:WORD_1
	v_add_co_ci_u32_e32 v2, vcc_lo, 0, v2, vcc_lo
	v_cmp_ne_u32_e32 vcc_lo, 0, v24
	v_lshlrev_b32_e32 v3, v3, v14
	v_bfe_u32 v28, v12, 20, 11
	v_cndmask_b32_e64 v24, 0, 1, vcc_lo
	v_cmp_gt_i32_e32 vcc_lo, 31, v8
	v_lshl_or_b32 v24, v24, 9, 0x7c00
	v_cndmask_b32_e32 v27, 0x7c00, v2, vcc_lo
	v_and_or_b32 v2, 0x1ff, v12, v11
	v_cmp_ne_u32_e32 vcc_lo, v3, v17
	v_cvt_f32_f16_e32 v3, v26
	v_add_nc_u32_e32 v17, 0xfffffc10, v25
	v_lshrrev_b32_e32 v26, 8, v12
	v_lshrrev_b32_e32 v12, 16, v12
	v_cndmask_b32_e64 v11, 0, 1, vcc_lo
	v_cmp_ne_u32_e32 vcc_lo, 0, v2
	v_cvt_f64_f32_e32 v[2:3], v3
	v_or_b32_e32 v11, v14, v11
	v_cndmask_b32_e64 v25, 0, 1, vcc_lo
	v_cmp_eq_u32_e32 vcc_lo, 0x40f, v8
	v_lshl_or_b32 v14, v17, 12, v16
	v_cndmask_b32_e32 v8, v27, v24, vcc_lo
	v_and_or_b32 v24, 0xffe, v26, v25
	v_sub_nc_u32_e32 v25, 0x3f1, v28
	v_cmp_gt_i32_e32 vcc_lo, 1, v17
	v_and_or_b32 v5, 0x8000, v5, v8
	v_and_b32_e32 v8, 0xffff, v13
	v_med3_i32 v25, v25, 0, 13
	v_cndmask_b32_e32 v11, v14, v11, vcc_lo
	v_or_b32_e32 v14, 0x1000, v24
	v_lshl_or_b32 v27, v5, 16, v8
	v_fma_f16 v5, v18, v23, -v9
	v_and_b32_e32 v13, 7, v11
	v_lshrrev_b32_e32 v26, v25, v14
	v_mul_f64 v[2:3], v[2:3], s[20:21]
	v_lshrrev_b32_e32 v11, 2, v11
	v_cvt_f32_f16_e32 v5, v5
	v_cmp_lt_i32_e32 vcc_lo, 5, v13
	v_lshlrev_b32_e32 v8, v25, v26
	v_cmp_eq_u32_e64 s0, 3, v13
	v_add_nc_u32_e32 v18, 0xfffffc10, v28
	v_cmp_ne_u32_e64 s1, v8, v14
	ds_read2_b32 v[8:9], v21 offset0:194 offset1:244
	s_or_b32 vcc_lo, s0, vcc_lo
	v_cvt_f64_f32_e32 v[13:14], v5
	v_add_co_ci_u32_e32 v11, vcc_lo, 0, v11, vcc_lo
	v_cndmask_b32_e64 v15, 0, 1, s1
	v_add_co_u32 v5, vcc_lo, v6, s22
	v_add_co_ci_u32_e32 v6, vcc_lo, s23, v7, vcc_lo
	v_or_b32_e32 v15, v26, v15
	v_lshl_or_b32 v21, v18, 12, v24
	v_cmp_gt_i32_e32 vcc_lo, 1, v18
	v_and_or_b32 v2, 0x1ff, v3, v2
	v_bfe_u32 v25, v3, 20, 11
	v_lshrrev_b32_e32 v23, 8, v3
	global_store_dword v[5:6], v27, off
	v_cndmask_b32_e32 v7, v21, v15, vcc_lo
	v_cmp_gt_i32_e32 vcc_lo, 31, v17
	s_waitcnt lgkmcnt(0)
	v_lshrrev_b32_e32 v21, 16, v8
	v_cndmask_b32_e32 v11, 0x7c00, v11, vcc_lo
	v_cmp_ne_u32_e32 vcc_lo, 0, v16
	v_and_b32_e32 v16, 7, v7
	s_waitcnt vmcnt(2)
	v_mul_f16_sdwa v26, v21, v19 dst_sel:DWORD dst_unused:UNUSED_PAD src0_sel:DWORD src1_sel:WORD_1
	v_mul_f64 v[13:14], v[13:14], s[20:21]
	v_lshrrev_b32_e32 v7, 2, v7
	v_cndmask_b32_e64 v15, 0, 1, vcc_lo
	v_cmp_ne_u32_e32 vcc_lo, 0, v2
	v_cmp_eq_u32_e64 s0, 3, v16
	v_fmac_f16_e32 v26, v8, v19
	v_lshl_or_b32 v28, v15, 9, 0x7c00
	v_cndmask_b32_e64 v2, 0, 1, vcc_lo
	v_cmp_lt_i32_e32 vcc_lo, 5, v16
	v_sub_nc_u32_e32 v15, 0x3f1, v25
	v_and_or_b32 v2, 0xffe, v23, v2
	s_or_b32 vcc_lo, s0, vcc_lo
	v_med3_i32 v29, v15, 0, 13
	v_cvt_f32_f16_e32 v15, v26
	v_add_co_ci_u32_e32 v7, vcc_lo, 0, v7, vcc_lo
	v_or_b32_e32 v23, 0x1000, v2
	v_cmp_eq_u32_e32 vcc_lo, 0x40f, v17
	v_cvt_f64_f32_e32 v[15:16], v15
	v_and_or_b32 v13, 0x1ff, v14, v13
	v_lshrrev_b32_e32 v26, v29, v23
	v_cndmask_b32_e32 v11, v11, v28, vcc_lo
	v_cmp_gt_i32_e32 vcc_lo, 31, v18
	v_bfe_u32 v28, v14, 20, 11
	v_lshlrev_b32_e32 v17, v29, v26
	v_and_or_b32 v4, 0x8000, v4, v11
	v_cndmask_b32_e32 v7, 0x7c00, v7, vcc_lo
	v_cmp_ne_u32_e32 vcc_lo, 0, v24
	v_and_b32_e32 v4, 0xffff, v4
	v_cndmask_b32_e64 v24, 0, 1, vcc_lo
	v_cmp_ne_u32_e32 vcc_lo, v17, v23
	v_add_nc_u32_e32 v23, 0xfffffc10, v25
	v_lshrrev_b32_e32 v25, 8, v14
	v_lshrrev_b32_e32 v14, 16, v14
	v_lshl_or_b32 v24, v24, 9, 0x7c00
	v_cndmask_b32_e64 v17, 0, 1, vcc_lo
	v_cmp_ne_u32_e32 vcc_lo, 0, v13
	v_mul_f64 v[15:16], v[15:16], s[20:21]
	v_or_b32_e32 v17, v26, v17
	v_cndmask_b32_e64 v13, 0, 1, vcc_lo
	v_cmp_eq_u32_e32 vcc_lo, 0x40f, v18
	v_lshl_or_b32 v26, v23, 12, v2
	v_and_or_b32 v13, 0xffe, v25, v13
	v_cndmask_b32_e32 v7, v7, v24, vcc_lo
	v_cmp_gt_i32_e32 vcc_lo, 1, v23
	v_sub_nc_u32_e32 v25, 0x3f1, v28
	v_or_b32_e32 v18, 0x1000, v13
	v_and_or_b32 v12, 0x8000, v12, v7
	v_cndmask_b32_e32 v17, v26, v17, vcc_lo
	v_med3_i32 v24, v25, 0, 13
	v_mul_f16_sdwa v7, v8, v19 dst_sel:DWORD dst_unused:UNUSED_PAD src0_sel:DWORD src1_sel:WORD_1
	v_lshl_or_b32 v26, v12, 16, v4
	v_and_b32_e32 v25, 7, v17
	v_lshrrev_b32_e32 v11, v24, v18
	v_lshrrev_b32_e32 v17, 2, v17
	v_and_or_b32 v15, 0x1ff, v16, v15
	v_fma_f16 v7, v19, v21, -v7
	v_cmp_lt_i32_e32 vcc_lo, 5, v25
	v_cmp_eq_u32_e64 s0, 3, v25
	v_lshlrev_b32_e32 v8, v24, v11
	v_lshrrev_b32_e32 v21, 8, v16
	v_cvt_f32_f16_e32 v7, v7
	v_bfe_u32 v24, v16, 20, 11
	s_or_b32 vcc_lo, s0, vcc_lo
	v_cmp_ne_u32_e64 s1, v8, v18
	v_add_co_ci_u32_e32 v17, vcc_lo, 0, v17, vcc_lo
	v_cmp_ne_u32_e32 vcc_lo, 0, v15
	v_add_nc_u32_e32 v18, 0xfffffc10, v28
	v_cndmask_b32_e64 v8, 0, 1, s1
	v_lshrrev_b32_e32 v12, 16, v9
	v_lshrrev_b32_e32 v16, 16, v16
	v_cndmask_b32_e64 v15, 0, 1, vcc_lo
	v_cmp_ne_u32_e32 vcc_lo, 0, v2
	v_or_b32_e32 v11, v11, v8
	v_cvt_f64_f32_e32 v[7:8], v7
	v_lshl_or_b32 v19, v18, 12, v13
	v_and_or_b32 v15, 0xffe, v21, v15
	v_cndmask_b32_e64 v2, 0, 1, vcc_lo
	v_cmp_gt_i32_e32 vcc_lo, 1, v18
	v_or_b32_e32 v25, 0x1000, v15
	v_lshl_or_b32 v2, v2, 9, 0x7c00
	v_cndmask_b32_e32 v11, v19, v11, vcc_lo
	v_cmp_gt_i32_e32 vcc_lo, 31, v23
	v_sub_nc_u32_e32 v19, 0x3f1, v24
	v_and_b32_e32 v21, 7, v11
	v_cndmask_b32_e32 v17, 0x7c00, v17, vcc_lo
	v_cmp_eq_u32_e32 vcc_lo, 0x40f, v23
	v_med3_i32 v19, v19, 0, 13
	v_cmp_eq_u32_e64 s0, 3, v21
	v_cndmask_b32_e32 v4, v17, v2, vcc_lo
	v_cmp_lt_i32_e32 vcc_lo, 5, v21
	v_lshrrev_b32_e32 v17, 16, v3
	v_lshrrev_b32_e32 v3, 2, v11
	v_lshrrev_b32_e32 v2, v19, v25
	v_mul_f64 v[7:8], v[7:8], s[20:21]
	s_or_b32 vcc_lo, s0, vcc_lo
	s_waitcnt vmcnt(1)
	v_mul_f16_sdwa v11, v12, v20 dst_sel:DWORD dst_unused:UNUSED_PAD src0_sel:DWORD src1_sel:WORD_1
	v_add_co_ci_u32_e32 v3, vcc_lo, 0, v3, vcc_lo
	v_lshlrev_b32_e32 v19, v19, v2
	v_cmp_ne_u32_e32 vcc_lo, 0, v13
	v_fmac_f16_e32 v11, v9, v20
	v_add_nc_u32_e32 v21, 0xfffffc10, v24
	v_and_or_b32 v4, 0x8000, v17, v4
	v_add_nc_u32_e32 v24, 0x800, v31
	v_cndmask_b32_e64 v13, 0, 1, vcc_lo
	v_cmp_ne_u32_e32 vcc_lo, v19, v25
	v_cvt_f32_f16_e32 v11, v11
	v_mul_f16_sdwa v9, v9, v20 dst_sel:DWORD dst_unused:UNUSED_PAD src0_sel:DWORD src1_sel:WORD_1
	v_lshl_or_b32 v13, v13, 9, 0x7c00
	v_cndmask_b32_e64 v19, 0, 1, vcc_lo
	v_cmp_gt_i32_e32 vcc_lo, 31, v18
	v_fma_f16 v9, v20, v12, -v9
	v_or_b32_e32 v19, v2, v19
	v_cndmask_b32_e32 v23, 0x7c00, v3, vcc_lo
	v_cmp_eq_u32_e32 vcc_lo, 0x40f, v18
	v_cvt_f64_f32_e32 v[2:3], v11
	v_lshl_or_b32 v11, v21, 12, v15
	v_and_or_b32 v7, 0x1ff, v8, v7
	v_lshrrev_b32_e32 v18, 8, v8
	v_cndmask_b32_e32 v13, v23, v13, vcc_lo
	v_cmp_gt_i32_e32 vcc_lo, 1, v21
	v_cvt_f32_f16_e32 v9, v9
	v_and_or_b32 v13, 0x8000, v14, v13
	v_cndmask_b32_e32 v11, v11, v19, vcc_lo
	v_cmp_ne_u32_e32 vcc_lo, 0, v7
	v_bfe_u32 v19, v8, 20, 11
	v_and_b32_e32 v14, 0xffff, v4
	v_add_co_u32 v4, s1, v5, s22
	v_cndmask_b32_e64 v7, 0, 1, vcc_lo
	v_and_b32_e32 v17, 7, v11
	v_add_co_ci_u32_e64 v5, s1, s23, v6, s1
	v_lshrrev_b32_e32 v6, 2, v11
	v_and_or_b32 v18, 0xffe, v18, v7
	v_sub_nc_u32_e32 v7, 0x3f1, v19
	v_cmp_lt_i32_e32 vcc_lo, 5, v17
	v_cmp_eq_u32_e64 s0, 3, v17
	v_mul_f64 v[2:3], v[2:3], s[20:21]
	v_or_b32_e32 v17, 0x1000, v18
	v_med3_i32 v7, v7, 0, 13
	v_lshl_or_b32 v23, v13, 16, v14
	s_or_b32 vcc_lo, s0, vcc_lo
	v_add_co_ci_u32_e32 v6, vcc_lo, 0, v6, vcc_lo
	v_lshrrev_b32_e32 v11, v7, v17
	v_cmp_ne_u32_e32 vcc_lo, 0, v15
	v_lshlrev_b32_e32 v14, v7, v11
	v_cndmask_b32_e64 v13, 0, 1, vcc_lo
	v_cmp_gt_i32_e32 vcc_lo, 31, v21
	v_lshl_or_b32 v13, v13, 9, 0x7c00
	v_cndmask_b32_e32 v15, 0x7c00, v6, vcc_lo
	v_cmp_ne_u32_e32 vcc_lo, v14, v17
	ds_read2_b32 v[6:7], v24 offset0:38 offset1:88
	v_and_or_b32 v2, 0x1ff, v3, v2
	v_add_nc_u32_e32 v17, 0xfffffc10, v19
	v_lshrrev_b32_e32 v19, 8, v3
	v_cndmask_b32_e64 v14, 0, 1, vcc_lo
	v_cmp_eq_u32_e32 vcc_lo, 0x40f, v21
	v_bfe_u32 v20, v3, 20, 11
	v_lshrrev_b32_e32 v3, 16, v3
	v_cndmask_b32_e32 v15, v15, v13, vcc_lo
	v_cmp_ne_u32_e32 vcc_lo, 0, v2
	v_or_b32_e32 v13, v11, v14
	v_lshl_or_b32 v14, v17, 12, v18
	v_cvt_f64_f32_e32 v[11:12], v9
	v_and_or_b32 v29, 0x8000, v16, v15
	v_cndmask_b32_e64 v2, 0, 1, vcc_lo
	v_cmp_gt_i32_e32 vcc_lo, 1, v17
	v_and_or_b32 v2, 0xffe, v19, v2
	v_cndmask_b32_e32 v9, v14, v13, vcc_lo
	v_sub_nc_u32_e32 v13, 0x3f1, v20
	s_waitcnt lgkmcnt(0)
	v_lshrrev_b32_e32 v19, 16, v6
	v_add_nc_u32_e32 v20, 0xfffffc10, v20
	v_or_b32_e32 v25, 0x1000, v2
	v_and_b32_e32 v21, 7, v9
	v_med3_i32 v27, v13, 0, 13
	s_waitcnt vmcnt(0)
	v_mul_f16_sdwa v28, v19, v22 dst_sel:DWORD dst_unused:UNUSED_PAD src0_sel:DWORD src1_sel:WORD_1
	v_add_co_u32 v13, vcc_lo, v4, s22
	v_add_co_ci_u32_e32 v14, vcc_lo, s23, v5, vcc_lo
	v_lshrrev_b32_e32 v30, v27, v25
	v_fmac_f16_e32 v28, v6, v22
	v_cmp_lt_i32_e32 vcc_lo, 5, v21
	v_cmp_eq_u32_e64 s0, 3, v21
	v_lshrrev_b32_e32 v9, 2, v9
	v_lshlrev_b32_e32 v21, v27, v30
	v_cvt_f32_f16_e32 v15, v28
	v_mul_f64 v[11:12], v[11:12], s[20:21]
	s_or_b32 vcc_lo, s0, vcc_lo
	v_mul_f16_sdwa v6, v6, v22 dst_sel:DWORD dst_unused:UNUSED_PAD src0_sel:DWORD src1_sel:WORD_1
	v_add_co_ci_u32_e32 v9, vcc_lo, 0, v9, vcc_lo
	v_cmp_ne_u32_e32 vcc_lo, v21, v25
	v_cvt_f64_f32_e32 v[15:16], v15
	v_lshl_or_b32 v25, v20, 12, v2
	v_fma_f16 v6, v22, v19, -v6
	v_cndmask_b32_e64 v21, 0, 1, vcc_lo
	v_cmp_ne_u32_e32 vcc_lo, 0, v18
	v_cvt_f32_f16_e32 v6, v6
	v_or_b32_e32 v21, v30, v21
	v_cndmask_b32_e64 v18, 0, 1, vcc_lo
	v_cmp_gt_i32_e32 vcc_lo, 31, v17
	v_lshl_or_b32 v18, v18, 9, 0x7c00
	v_cndmask_b32_e32 v9, 0x7c00, v9, vcc_lo
	v_cmp_gt_i32_e32 vcc_lo, 1, v20
	v_and_or_b32 v11, 0x1ff, v12, v11
	v_bfe_u32 v22, v12, 20, 11
	v_cndmask_b32_e32 v19, v25, v21, vcc_lo
	v_cmp_eq_u32_e32 vcc_lo, 0x40f, v17
	v_mul_f64 v[15:16], v[15:16], s[20:21]
	v_lshrrev_b32_e32 v21, 8, v12
	v_lshrrev_b32_e32 v12, 16, v12
	v_cndmask_b32_e32 v17, v9, v18, vcc_lo
	v_lshrrev_b32_e32 v18, 16, v8
	v_cvt_f64_f32_e32 v[8:9], v6
	v_cmp_ne_u32_e32 vcc_lo, 0, v11
	v_and_b32_e32 v6, 7, v19
	v_and_or_b32 v17, 0x8000, v18, v17
	v_and_b32_e32 v18, 0xffff, v29
	v_cndmask_b32_e64 v11, 0, 1, vcc_lo
	v_cmp_lt_i32_e32 vcc_lo, 5, v6
	v_cmp_eq_u32_e64 s0, 3, v6
	v_lshl_or_b32 v6, v17, 16, v18
	v_lshrrev_b32_e32 v17, 2, v19
	v_and_or_b32 v11, 0xffe, v21, v11
	v_sub_nc_u32_e32 v21, 0x3f1, v22
	s_or_b32 vcc_lo, s0, vcc_lo
	v_add_co_ci_u32_e32 v17, vcc_lo, 0, v17, vcc_lo
	v_or_b32_e32 v18, 0x1000, v11
	v_med3_i32 v19, v21, 0, 13
	v_cmp_ne_u32_e32 vcc_lo, 0, v2
	v_and_or_b32 v15, 0x1ff, v16, v15
	v_mul_f64 v[8:9], v[8:9], s[20:21]
	v_lshrrev_b32_e32 v25, 8, v16
	v_lshrrev_b32_e32 v21, v19, v18
	v_cndmask_b32_e64 v2, 0, 1, vcc_lo
	v_cmp_gt_i32_e32 vcc_lo, 31, v20
	v_bfe_u32 v27, v16, 20, 11
	v_lshrrev_b32_e32 v16, 16, v16
	v_lshlrev_b32_e32 v19, v19, v21
	v_lshl_or_b32 v2, v2, 9, 0x7c00
	v_cndmask_b32_e32 v17, 0x7c00, v17, vcc_lo
	v_cmp_ne_u32_e32 vcc_lo, 0, v15
	v_cndmask_b32_e64 v15, 0, 1, vcc_lo
	v_cmp_ne_u32_e32 vcc_lo, v19, v18
	v_add_nc_u32_e32 v19, 0xfffffc10, v22
	v_sub_nc_u32_e32 v22, 0x3f1, v27
	v_and_or_b32 v15, 0xffe, v25, v15
	v_cndmask_b32_e64 v18, 0, 1, vcc_lo
	v_cmp_eq_u32_e32 vcc_lo, 0x40f, v20
	v_and_or_b32 v8, 0x1ff, v9, v8
	v_bfe_u32 v25, v9, 20, 11
	v_or_b32_e32 v20, 0x1000, v15
	v_cndmask_b32_e32 v2, v17, v2, vcc_lo
	v_or_b32_e32 v17, v21, v18
	v_lshl_or_b32 v18, v19, 12, v11
	v_med3_i32 v21, v22, 0, 13
	v_cmp_gt_i32_e32 vcc_lo, 1, v19
	v_lshrrev_b32_e32 v22, 8, v9
	v_and_or_b32 v2, 0x8000, v3, v2
	v_lshrrev_b32_e32 v9, 16, v9
	v_cndmask_b32_e32 v17, v18, v17, vcc_lo
	v_lshrrev_b32_e32 v18, v21, v20
	v_cmp_ne_u32_e32 vcc_lo, 0, v8
	v_and_b32_e32 v28, 7, v17
	v_lshlrev_b32_e32 v21, v21, v18
	v_cndmask_b32_e64 v8, 0, 1, vcc_lo
	v_lshrrev_b32_e32 v17, 2, v17
	v_cmp_lt_i32_e32 vcc_lo, 5, v28
	v_cmp_ne_u32_e64 s0, v21, v20
	v_and_or_b32 v3, 0xffe, v22, v8
	v_sub_nc_u32_e32 v8, 0x3f1, v25
	v_add_nc_u32_e32 v22, 0xfffffc10, v27
	v_cndmask_b32_e64 v20, 0, 1, s0
	v_cmp_eq_u32_e64 s0, 3, v28
	v_or_b32_e32 v21, 0x1000, v3
	v_med3_i32 v8, v8, 0, 13
	v_lshl_or_b32 v27, v22, 12, v15
	v_or_b32_e32 v18, v18, v20
	s_or_b32 vcc_lo, s0, vcc_lo
	v_add_co_ci_u32_e32 v17, vcc_lo, 0, v17, vcc_lo
	v_lshrrev_b32_e32 v20, v8, v21
	v_cmp_gt_i32_e32 vcc_lo, 1, v22
	v_lshlrev_b32_e32 v8, v8, v20
	v_cndmask_b32_e32 v18, v27, v18, vcc_lo
	v_cmp_ne_u32_e32 vcc_lo, 0, v11
	v_cndmask_b32_e64 v11, 0, 1, vcc_lo
	v_cmp_ne_u32_e32 vcc_lo, v8, v21
	v_add_nc_u32_e32 v21, 0xfffffc10, v25
	v_and_b32_e32 v25, 7, v18
	v_lshl_or_b32 v11, v11, 9, 0x7c00
	v_cndmask_b32_e64 v8, 0, 1, vcc_lo
	v_cmp_gt_i32_e32 vcc_lo, 31, v19
	v_cmp_gt_i32_e64 s1, 1, v21
	v_cmp_eq_u32_e64 s0, 3, v25
	v_or_b32_e32 v8, v20, v8
	v_lshl_or_b32 v20, v21, 12, v3
	v_cndmask_b32_e32 v17, 0x7c00, v17, vcc_lo
	v_cmp_lt_i32_e32 vcc_lo, 5, v25
	v_cndmask_b32_e64 v8, v20, v8, s1
	v_cmp_eq_u32_e64 s1, 0x40f, v19
	s_or_b32 vcc_lo, s0, vcc_lo
	v_cndmask_b32_e64 v11, v17, v11, s1
	v_lshrrev_b32_e32 v17, 2, v18
	v_and_b32_e32 v18, 7, v8
	v_lshrrev_b32_e32 v8, 2, v8
	v_cmp_gt_i32_e64 s1, 31, v22
	v_and_or_b32 v11, 0x8000, v12, v11
	v_add_co_ci_u32_e32 v17, vcc_lo, 0, v17, vcc_lo
	v_cmp_ne_u32_e32 vcc_lo, 0, v15
	v_cmp_eq_u32_e64 s0, 3, v18
	v_and_b32_e32 v12, 0xffff, v2
	v_cndmask_b32_e64 v17, 0x7c00, v17, s1
	v_cndmask_b32_e64 v15, 0, 1, vcc_lo
	v_cmp_lt_i32_e32 vcc_lo, 5, v18
	v_lshl_or_b32 v15, v15, 9, 0x7c00
	s_or_b32 vcc_lo, s0, vcc_lo
	v_add_co_ci_u32_e32 v8, vcc_lo, 0, v8, vcc_lo
	v_cmp_ne_u32_e32 vcc_lo, 0, v3
	v_cndmask_b32_e64 v3, 0, 1, vcc_lo
	v_cmp_eq_u32_e32 vcc_lo, 0x40f, v22
	v_lshl_or_b32 v3, v3, 9, 0x7c00
	v_cndmask_b32_e32 v15, v17, v15, vcc_lo
	v_cmp_gt_i32_e32 vcc_lo, 31, v21
	v_and_or_b32 v15, 0x8000, v16, v15
	v_cndmask_b32_e32 v8, 0x7c00, v8, vcc_lo
	v_cmp_eq_u32_e32 vcc_lo, 0x40f, v21
	v_lshl_or_b32 v16, v11, 16, v12
	v_and_b32_e32 v12, 0xffff, v15
	v_cndmask_b32_e32 v8, v8, v3, vcc_lo
	v_add_co_u32 v2, vcc_lo, v13, s22
	v_add_co_ci_u32_e32 v3, vcc_lo, s23, v14, vcc_lo
	v_and_or_b32 v11, 0x8000, v9, v8
	v_add_co_u32 v8, vcc_lo, v2, s22
	v_add_co_ci_u32_e32 v9, vcc_lo, s23, v3, vcc_lo
	v_lshl_or_b32 v15, v11, 16, v12
	v_add_co_u32 v11, vcc_lo, v8, s22
	v_add_co_ci_u32_e32 v12, vcc_lo, s23, v9, vcc_lo
	global_store_dword v[4:5], v26, off
	global_store_dword v[13:14], v23, off
	;; [unrolled: 1-line block ×5, first 2 shown]
	global_load_dword v2, v[0:1], off offset:352
	v_lshrrev_b32_e32 v3, 16, v7
	s_waitcnt vmcnt(0)
	v_mul_f16_sdwa v4, v3, v2 dst_sel:DWORD dst_unused:UNUSED_PAD src0_sel:DWORD src1_sel:WORD_1
	v_mul_f16_sdwa v5, v7, v2 dst_sel:DWORD dst_unused:UNUSED_PAD src0_sel:DWORD src1_sel:WORD_1
	v_fmac_f16_e32 v4, v7, v2
	v_fma_f16 v2, v2, v3, -v5
	v_cvt_f32_f16_e32 v3, v4
	v_cvt_f32_f16_e32 v4, v2
	v_cvt_f64_f32_e32 v[2:3], v3
	v_cvt_f64_f32_e32 v[4:5], v4
	v_mul_f64 v[2:3], v[2:3], s[20:21]
	v_mul_f64 v[4:5], v[4:5], s[20:21]
	v_and_or_b32 v2, 0x1ff, v3, v2
	v_and_or_b32 v4, 0x1ff, v5, v4
	v_lshrrev_b32_e32 v6, 8, v3
	v_bfe_u32 v7, v3, 20, 11
	v_lshrrev_b32_e32 v8, 8, v5
	v_cmp_ne_u32_e32 vcc_lo, 0, v2
	v_bfe_u32 v9, v5, 20, 11
	v_lshrrev_b32_e32 v3, 16, v3
	v_lshrrev_b32_e32 v5, 16, v5
	v_cndmask_b32_e64 v2, 0, 1, vcc_lo
	v_cmp_ne_u32_e32 vcc_lo, 0, v4
	v_and_or_b32 v2, 0xffe, v6, v2
	v_cndmask_b32_e64 v4, 0, 1, vcc_lo
	v_sub_nc_u32_e32 v6, 0x3f1, v7
	v_add_nc_u32_e32 v7, 0xfffffc10, v7
	v_or_b32_e32 v13, 0x1000, v2
	v_and_or_b32 v4, 0xffe, v8, v4
	v_sub_nc_u32_e32 v8, 0x3f1, v9
	v_med3_i32 v6, v6, 0, 13
	v_add_nc_u32_e32 v9, 0xfffffc10, v9
	v_or_b32_e32 v14, 0x1000, v4
	v_med3_i32 v8, v8, 0, 13
	v_lshrrev_b32_e32 v15, v6, v13
	v_lshrrev_b32_e32 v16, v8, v14
	v_lshlrev_b32_e32 v6, v6, v15
	v_lshlrev_b32_e32 v8, v8, v16
	v_cmp_ne_u32_e32 vcc_lo, v6, v13
	v_lshl_or_b32 v13, v7, 12, v2
	v_cndmask_b32_e64 v6, 0, 1, vcc_lo
	v_cmp_ne_u32_e32 vcc_lo, v8, v14
	v_lshl_or_b32 v14, v9, 12, v4
	v_or_b32_e32 v6, v15, v6
	v_cndmask_b32_e64 v8, 0, 1, vcc_lo
	v_cmp_gt_i32_e32 vcc_lo, 1, v7
	v_or_b32_e32 v8, v16, v8
	v_cndmask_b32_e32 v6, v13, v6, vcc_lo
	v_cmp_gt_i32_e32 vcc_lo, 1, v9
	v_and_b32_e32 v13, 7, v6
	v_cndmask_b32_e32 v8, v14, v8, vcc_lo
	v_lshrrev_b32_e32 v6, 2, v6
	v_cmp_lt_i32_e32 vcc_lo, 5, v13
	v_cmp_eq_u32_e64 s0, 3, v13
	v_and_b32_e32 v14, 7, v8
	v_lshrrev_b32_e32 v8, 2, v8
	s_or_b32 vcc_lo, s0, vcc_lo
	v_cmp_lt_i32_e64 s1, 5, v14
	v_add_co_ci_u32_e32 v6, vcc_lo, 0, v6, vcc_lo
	v_cmp_eq_u32_e64 s2, 3, v14
	v_cmp_ne_u32_e32 vcc_lo, 0, v2
	v_cndmask_b32_e64 v2, 0, 1, vcc_lo
	s_or_b32 vcc_lo, s2, s1
	v_add_co_ci_u32_e32 v8, vcc_lo, 0, v8, vcc_lo
	v_cmp_ne_u32_e32 vcc_lo, 0, v4
	v_lshl_or_b32 v2, v2, 9, 0x7c00
	v_cndmask_b32_e64 v4, 0, 1, vcc_lo
	v_cmp_gt_i32_e32 vcc_lo, 31, v7
	v_lshl_or_b32 v4, v4, 9, 0x7c00
	v_cndmask_b32_e32 v6, 0x7c00, v6, vcc_lo
	v_cmp_gt_i32_e32 vcc_lo, 31, v9
	v_cndmask_b32_e32 v8, 0x7c00, v8, vcc_lo
	v_cmp_eq_u32_e32 vcc_lo, 0x40f, v7
	v_cndmask_b32_e32 v2, v6, v2, vcc_lo
	v_cmp_eq_u32_e32 vcc_lo, 0x40f, v9
	v_and_or_b32 v2, 0x8000, v3, v2
	v_cndmask_b32_e32 v4, v8, v4, vcc_lo
	v_and_b32_e32 v2, 0xffff, v2
	v_and_or_b32 v3, 0x8000, v5, v4
	v_lshl_or_b32 v4, v3, 16, v2
	v_add_co_u32 v2, vcc_lo, v11, s22
	v_add_co_ci_u32_e32 v3, vcc_lo, s23, v12, vcc_lo
	global_store_dword v[2:3], v4, off
	global_load_dword v6, v[0:1], off offset:552
	ds_read2_b32 v[4:5], v24 offset0:138 offset1:188
	s_waitcnt lgkmcnt(0)
	v_lshrrev_b32_e32 v7, 16, v4
	s_waitcnt vmcnt(0)
	v_mul_f16_sdwa v8, v7, v6 dst_sel:DWORD dst_unused:UNUSED_PAD src0_sel:DWORD src1_sel:WORD_1
	v_mul_f16_sdwa v9, v4, v6 dst_sel:DWORD dst_unused:UNUSED_PAD src0_sel:DWORD src1_sel:WORD_1
	v_fmac_f16_e32 v8, v4, v6
	v_fma_f16 v4, v6, v7, -v9
	v_cvt_f32_f16_e32 v6, v8
	v_cvt_f32_f16_e32 v4, v4
	v_cvt_f64_f32_e32 v[6:7], v6
	v_cvt_f64_f32_e32 v[8:9], v4
	v_mul_f64 v[6:7], v[6:7], s[20:21]
	v_mul_f64 v[8:9], v[8:9], s[20:21]
	v_and_or_b32 v4, 0x1ff, v7, v6
	v_and_or_b32 v8, 0x1ff, v9, v8
	v_lshrrev_b32_e32 v6, 8, v7
	v_bfe_u32 v11, v7, 20, 11
	v_lshrrev_b32_e32 v12, 8, v9
	v_cmp_ne_u32_e32 vcc_lo, 0, v4
	v_bfe_u32 v13, v9, 20, 11
	v_lshrrev_b32_e32 v7, 16, v7
	v_sub_nc_u32_e32 v14, 0x3f1, v11
	v_add_nc_u32_e32 v11, 0xfffffc10, v11
	v_cndmask_b32_e64 v4, 0, 1, vcc_lo
	v_cmp_ne_u32_e32 vcc_lo, 0, v8
	v_lshrrev_b32_e32 v9, 16, v9
	v_and_or_b32 v4, 0xffe, v6, v4
	v_cndmask_b32_e64 v8, 0, 1, vcc_lo
	v_sub_nc_u32_e32 v6, 0x3f1, v13
	v_add_nc_u32_e32 v13, 0xfffffc10, v13
	v_and_or_b32 v8, 0xffe, v12, v8
	v_med3_i32 v12, v14, 0, 13
	v_or_b32_e32 v14, 0x1000, v4
	v_med3_i32 v6, v6, 0, 13
	v_or_b32_e32 v15, 0x1000, v8
	v_lshrrev_b32_e32 v16, v12, v14
	v_lshrrev_b32_e32 v17, v6, v15
	v_lshlrev_b32_e32 v12, v12, v16
	v_lshlrev_b32_e32 v6, v6, v17
	v_cmp_ne_u32_e32 vcc_lo, v12, v14
	v_lshl_or_b32 v14, v11, 12, v4
	v_cndmask_b32_e64 v12, 0, 1, vcc_lo
	v_cmp_ne_u32_e32 vcc_lo, v6, v15
	v_lshl_or_b32 v15, v13, 12, v8
	v_or_b32_e32 v12, v16, v12
	v_cndmask_b32_e64 v6, 0, 1, vcc_lo
	v_cmp_gt_i32_e32 vcc_lo, 1, v11
	v_or_b32_e32 v6, v17, v6
	v_cndmask_b32_e32 v12, v14, v12, vcc_lo
	v_cmp_gt_i32_e32 vcc_lo, 1, v13
	v_and_b32_e32 v14, 7, v12
	v_cndmask_b32_e32 v6, v15, v6, vcc_lo
	v_cmp_ne_u32_e32 vcc_lo, 0, v4
	v_lshrrev_b32_e32 v12, 2, v12
	v_cmp_eq_u32_e64 s0, 3, v14
	v_and_b32_e32 v15, 7, v6
	v_cndmask_b32_e64 v4, 0, 1, vcc_lo
	v_cmp_ne_u32_e32 vcc_lo, 0, v8
	v_lshrrev_b32_e32 v6, 2, v6
	v_cmp_lt_i32_e64 s1, 5, v15
	v_cmp_eq_u32_e64 s2, 3, v15
	v_cndmask_b32_e64 v8, 0, 1, vcc_lo
	v_cmp_lt_i32_e32 vcc_lo, 5, v14
	v_lshl_or_b32 v4, v4, 9, 0x7c00
	v_lshl_or_b32 v8, v8, 9, 0x7c00
	s_or_b32 vcc_lo, s0, vcc_lo
	v_add_co_ci_u32_e32 v12, vcc_lo, 0, v12, vcc_lo
	s_or_b32 vcc_lo, s2, s1
	v_add_co_ci_u32_e32 v6, vcc_lo, 0, v6, vcc_lo
	v_cmp_gt_i32_e32 vcc_lo, 31, v11
	v_cndmask_b32_e32 v12, 0x7c00, v12, vcc_lo
	v_cmp_gt_i32_e32 vcc_lo, 31, v13
	v_cndmask_b32_e32 v6, 0x7c00, v6, vcc_lo
	v_cmp_eq_u32_e32 vcc_lo, 0x40f, v11
	v_cndmask_b32_e32 v4, v12, v4, vcc_lo
	v_cmp_eq_u32_e32 vcc_lo, 0x40f, v13
	v_and_or_b32 v4, 0x8000, v7, v4
	v_cndmask_b32_e32 v6, v6, v8, vcc_lo
	v_add_co_u32 v2, vcc_lo, v2, s22
	v_add_co_ci_u32_e32 v3, vcc_lo, s23, v3, vcc_lo
	v_and_or_b32 v6, 0x8000, v9, v6
	v_and_b32_e32 v4, 0xffff, v4
	v_lshl_or_b32 v4, v6, 16, v4
	v_lshrrev_b32_e32 v6, 16, v5
	global_store_dword v[2:3], v4, off
	global_load_dword v4, v[0:1], off offset:752
	s_waitcnt vmcnt(0)
	v_mul_f16_sdwa v7, v6, v4 dst_sel:DWORD dst_unused:UNUSED_PAD src0_sel:DWORD src1_sel:WORD_1
	v_mul_f16_sdwa v8, v5, v4 dst_sel:DWORD dst_unused:UNUSED_PAD src0_sel:DWORD src1_sel:WORD_1
	v_fmac_f16_e32 v7, v5, v4
	v_fma_f16 v4, v4, v6, -v8
	v_cvt_f32_f16_e32 v5, v7
	v_cvt_f32_f16_e32 v6, v4
	v_cvt_f64_f32_e32 v[4:5], v5
	v_cvt_f64_f32_e32 v[6:7], v6
	v_mul_f64 v[4:5], v[4:5], s[20:21]
	v_mul_f64 v[6:7], v[6:7], s[20:21]
	v_and_or_b32 v4, 0x1ff, v5, v4
	v_and_or_b32 v6, 0x1ff, v7, v6
	v_lshrrev_b32_e32 v8, 8, v5
	v_bfe_u32 v9, v5, 20, 11
	v_lshrrev_b32_e32 v11, 8, v7
	v_cmp_ne_u32_e32 vcc_lo, 0, v4
	v_bfe_u32 v12, v7, 20, 11
	v_lshrrev_b32_e32 v5, 16, v5
	v_sub_nc_u32_e32 v13, 0x3f1, v9
	v_add_nc_u32_e32 v9, 0xfffffc10, v9
	v_cndmask_b32_e64 v4, 0, 1, vcc_lo
	v_cmp_ne_u32_e32 vcc_lo, 0, v6
	v_lshrrev_b32_e32 v7, 16, v7
	v_and_or_b32 v4, 0xffe, v8, v4
	v_cndmask_b32_e64 v6, 0, 1, vcc_lo
	v_sub_nc_u32_e32 v8, 0x3f1, v12
	v_add_nc_u32_e32 v12, 0xfffffc10, v12
	v_and_or_b32 v6, 0xffe, v11, v6
	v_med3_i32 v11, v13, 0, 13
	v_or_b32_e32 v13, 0x1000, v4
	v_med3_i32 v8, v8, 0, 13
	v_or_b32_e32 v14, 0x1000, v6
	v_lshrrev_b32_e32 v15, v11, v13
	v_lshrrev_b32_e32 v16, v8, v14
	v_lshlrev_b32_e32 v11, v11, v15
	v_lshlrev_b32_e32 v8, v8, v16
	v_cmp_ne_u32_e32 vcc_lo, v11, v13
	v_lshl_or_b32 v13, v9, 12, v4
	v_cndmask_b32_e64 v11, 0, 1, vcc_lo
	v_cmp_ne_u32_e32 vcc_lo, v8, v14
	v_lshl_or_b32 v14, v12, 12, v6
	v_or_b32_e32 v11, v15, v11
	v_cndmask_b32_e64 v8, 0, 1, vcc_lo
	v_cmp_gt_i32_e32 vcc_lo, 1, v9
	v_or_b32_e32 v8, v16, v8
	v_cndmask_b32_e32 v11, v13, v11, vcc_lo
	v_cmp_gt_i32_e32 vcc_lo, 1, v12
	v_and_b32_e32 v13, 7, v11
	v_cndmask_b32_e32 v8, v14, v8, vcc_lo
	v_cmp_ne_u32_e32 vcc_lo, 0, v4
	v_lshrrev_b32_e32 v11, 2, v11
	v_cmp_eq_u32_e64 s0, 3, v13
	v_and_b32_e32 v14, 7, v8
	v_cndmask_b32_e64 v4, 0, 1, vcc_lo
	v_cmp_ne_u32_e32 vcc_lo, 0, v6
	v_lshrrev_b32_e32 v8, 2, v8
	v_cmp_lt_i32_e64 s1, 5, v14
	v_cmp_eq_u32_e64 s2, 3, v14
	v_cndmask_b32_e64 v6, 0, 1, vcc_lo
	v_cmp_lt_i32_e32 vcc_lo, 5, v13
	v_lshl_or_b32 v4, v4, 9, 0x7c00
	v_lshl_or_b32 v6, v6, 9, 0x7c00
	s_or_b32 vcc_lo, s0, vcc_lo
	v_add_co_ci_u32_e32 v11, vcc_lo, 0, v11, vcc_lo
	s_or_b32 vcc_lo, s2, s1
	v_add_co_ci_u32_e32 v8, vcc_lo, 0, v8, vcc_lo
	v_cmp_gt_i32_e32 vcc_lo, 31, v9
	v_cndmask_b32_e32 v11, 0x7c00, v11, vcc_lo
	v_cmp_gt_i32_e32 vcc_lo, 31, v12
	v_cndmask_b32_e32 v8, 0x7c00, v8, vcc_lo
	v_cmp_eq_u32_e32 vcc_lo, 0x40f, v9
	v_cndmask_b32_e32 v4, v11, v4, vcc_lo
	v_cmp_eq_u32_e32 vcc_lo, 0x40f, v12
	v_and_or_b32 v4, 0x8000, v5, v4
	v_cndmask_b32_e32 v6, v8, v6, vcc_lo
	v_add_co_u32 v2, vcc_lo, v2, s22
	v_add_co_ci_u32_e32 v3, vcc_lo, s23, v3, vcc_lo
	v_and_or_b32 v5, 0x8000, v7, v6
	v_and_b32_e32 v4, 0xffff, v4
	v_lshl_or_b32 v4, v5, 16, v4
	global_store_dword v[2:3], v4, off
	global_load_dword v0, v[0:1], off offset:952
	v_lshrrev_b32_e32 v1, 16, v10
	s_waitcnt vmcnt(0)
	v_mul_f16_sdwa v4, v1, v0 dst_sel:DWORD dst_unused:UNUSED_PAD src0_sel:DWORD src1_sel:WORD_1
	v_mul_f16_sdwa v5, v10, v0 dst_sel:DWORD dst_unused:UNUSED_PAD src0_sel:DWORD src1_sel:WORD_1
	v_fmac_f16_e32 v4, v10, v0
	v_fma_f16 v0, v0, v1, -v5
	v_cvt_f32_f16_e32 v1, v4
	v_cvt_f32_f16_e32 v4, v0
	v_cvt_f64_f32_e32 v[0:1], v1
	v_cvt_f64_f32_e32 v[4:5], v4
	v_mul_f64 v[0:1], v[0:1], s[20:21]
	v_mul_f64 v[4:5], v[4:5], s[20:21]
	v_and_or_b32 v0, 0x1ff, v1, v0
	v_and_or_b32 v4, 0x1ff, v5, v4
	v_lshrrev_b32_e32 v6, 8, v1
	v_bfe_u32 v7, v1, 20, 11
	v_lshrrev_b32_e32 v8, 8, v5
	v_cmp_ne_u32_e32 vcc_lo, 0, v0
	v_bfe_u32 v9, v5, 20, 11
	v_lshrrev_b32_e32 v1, 16, v1
	v_sub_nc_u32_e32 v10, 0x3f1, v7
	v_add_nc_u32_e32 v7, 0xfffffc10, v7
	v_cndmask_b32_e64 v0, 0, 1, vcc_lo
	v_cmp_ne_u32_e32 vcc_lo, 0, v4
	v_lshrrev_b32_e32 v5, 16, v5
	v_and_or_b32 v0, 0xffe, v6, v0
	v_cndmask_b32_e64 v4, 0, 1, vcc_lo
	v_sub_nc_u32_e32 v6, 0x3f1, v9
	v_add_nc_u32_e32 v9, 0xfffffc10, v9
	v_and_or_b32 v4, 0xffe, v8, v4
	v_med3_i32 v8, v10, 0, 13
	v_or_b32_e32 v10, 0x1000, v0
	v_med3_i32 v6, v6, 0, 13
	v_or_b32_e32 v11, 0x1000, v4
	v_lshrrev_b32_e32 v12, v8, v10
	v_lshrrev_b32_e32 v13, v6, v11
	v_lshlrev_b32_e32 v8, v8, v12
	v_lshlrev_b32_e32 v6, v6, v13
	v_cmp_ne_u32_e32 vcc_lo, v8, v10
	v_lshl_or_b32 v10, v7, 12, v0
	v_cndmask_b32_e64 v8, 0, 1, vcc_lo
	v_cmp_ne_u32_e32 vcc_lo, v6, v11
	v_lshl_or_b32 v11, v9, 12, v4
	v_or_b32_e32 v8, v12, v8
	v_cndmask_b32_e64 v6, 0, 1, vcc_lo
	v_cmp_gt_i32_e32 vcc_lo, 1, v7
	v_or_b32_e32 v6, v13, v6
	v_cndmask_b32_e32 v8, v10, v8, vcc_lo
	v_cmp_gt_i32_e32 vcc_lo, 1, v9
	v_and_b32_e32 v10, 7, v8
	v_cndmask_b32_e32 v6, v11, v6, vcc_lo
	v_cmp_ne_u32_e32 vcc_lo, 0, v0
	v_lshrrev_b32_e32 v8, 2, v8
	v_cmp_eq_u32_e64 s0, 3, v10
	v_and_b32_e32 v11, 7, v6
	v_cndmask_b32_e64 v0, 0, 1, vcc_lo
	v_cmp_ne_u32_e32 vcc_lo, 0, v4
	v_lshrrev_b32_e32 v6, 2, v6
	v_cmp_lt_i32_e64 s1, 5, v11
	v_cmp_eq_u32_e64 s2, 3, v11
	v_cndmask_b32_e64 v4, 0, 1, vcc_lo
	v_cmp_lt_i32_e32 vcc_lo, 5, v10
	v_lshl_or_b32 v0, v0, 9, 0x7c00
	v_lshl_or_b32 v4, v4, 9, 0x7c00
	s_or_b32 vcc_lo, s0, vcc_lo
	v_add_co_ci_u32_e32 v8, vcc_lo, 0, v8, vcc_lo
	s_or_b32 vcc_lo, s2, s1
	v_add_co_ci_u32_e32 v6, vcc_lo, 0, v6, vcc_lo
	v_cmp_gt_i32_e32 vcc_lo, 31, v7
	v_cndmask_b32_e32 v8, 0x7c00, v8, vcc_lo
	v_cmp_gt_i32_e32 vcc_lo, 31, v9
	v_cndmask_b32_e32 v6, 0x7c00, v6, vcc_lo
	v_cmp_eq_u32_e32 vcc_lo, 0x40f, v7
	v_cndmask_b32_e32 v0, v8, v0, vcc_lo
	v_cmp_eq_u32_e32 vcc_lo, 0x40f, v9
	v_and_or_b32 v0, 0x8000, v1, v0
	v_cndmask_b32_e32 v4, v6, v4, vcc_lo
	v_and_b32_e32 v0, 0xffff, v0
	v_and_or_b32 v1, 0x8000, v5, v4
	v_lshl_or_b32 v4, v1, 16, v0
	v_add_co_u32 v0, vcc_lo, v2, s22
	v_add_co_ci_u32_e32 v1, vcc_lo, s23, v3, vcc_lo
	global_store_dword v[0:1], v4, off
.LBB0_23:
	s_endpgm
	.section	.rodata,"a",@progbits
	.p2align	6, 0x0
	.amdhsa_kernel bluestein_single_back_len800_dim1_half_op_CI_CI
		.amdhsa_group_segment_fixed_size 3200
		.amdhsa_private_segment_fixed_size 0
		.amdhsa_kernarg_size 104
		.amdhsa_user_sgpr_count 6
		.amdhsa_user_sgpr_private_segment_buffer 1
		.amdhsa_user_sgpr_dispatch_ptr 0
		.amdhsa_user_sgpr_queue_ptr 0
		.amdhsa_user_sgpr_kernarg_segment_ptr 1
		.amdhsa_user_sgpr_dispatch_id 0
		.amdhsa_user_sgpr_flat_scratch_init 0
		.amdhsa_user_sgpr_private_segment_size 0
		.amdhsa_wavefront_size32 1
		.amdhsa_uses_dynamic_stack 0
		.amdhsa_system_sgpr_private_segment_wavefront_offset 0
		.amdhsa_system_sgpr_workgroup_id_x 1
		.amdhsa_system_sgpr_workgroup_id_y 0
		.amdhsa_system_sgpr_workgroup_id_z 0
		.amdhsa_system_sgpr_workgroup_info 0
		.amdhsa_system_vgpr_workitem_id 0
		.amdhsa_next_free_vgpr 111
		.amdhsa_next_free_sgpr 24
		.amdhsa_reserve_vcc 1
		.amdhsa_reserve_flat_scratch 0
		.amdhsa_float_round_mode_32 0
		.amdhsa_float_round_mode_16_64 0
		.amdhsa_float_denorm_mode_32 3
		.amdhsa_float_denorm_mode_16_64 3
		.amdhsa_dx10_clamp 1
		.amdhsa_ieee_mode 1
		.amdhsa_fp16_overflow 0
		.amdhsa_workgroup_processor_mode 1
		.amdhsa_memory_ordered 1
		.amdhsa_forward_progress 0
		.amdhsa_shared_vgpr_count 0
		.amdhsa_exception_fp_ieee_invalid_op 0
		.amdhsa_exception_fp_denorm_src 0
		.amdhsa_exception_fp_ieee_div_zero 0
		.amdhsa_exception_fp_ieee_overflow 0
		.amdhsa_exception_fp_ieee_underflow 0
		.amdhsa_exception_fp_ieee_inexact 0
		.amdhsa_exception_int_div_zero 0
	.end_amdhsa_kernel
	.text
.Lfunc_end0:
	.size	bluestein_single_back_len800_dim1_half_op_CI_CI, .Lfunc_end0-bluestein_single_back_len800_dim1_half_op_CI_CI
                                        ; -- End function
	.section	.AMDGPU.csdata,"",@progbits
; Kernel info:
; codeLenInByte = 18748
; NumSgprs: 26
; NumVgprs: 111
; ScratchSize: 0
; MemoryBound: 0
; FloatMode: 240
; IeeeMode: 1
; LDSByteSize: 3200 bytes/workgroup (compile time only)
; SGPRBlocks: 3
; VGPRBlocks: 13
; NumSGPRsForWavesPerEU: 26
; NumVGPRsForWavesPerEU: 111
; Occupancy: 9
; WaveLimiterHint : 1
; COMPUTE_PGM_RSRC2:SCRATCH_EN: 0
; COMPUTE_PGM_RSRC2:USER_SGPR: 6
; COMPUTE_PGM_RSRC2:TRAP_HANDLER: 0
; COMPUTE_PGM_RSRC2:TGID_X_EN: 1
; COMPUTE_PGM_RSRC2:TGID_Y_EN: 0
; COMPUTE_PGM_RSRC2:TGID_Z_EN: 0
; COMPUTE_PGM_RSRC2:TIDIG_COMP_CNT: 0
	.text
	.p2alignl 6, 3214868480
	.fill 48, 4, 3214868480
	.type	__hip_cuid_16db98b9bb4fc86a,@object ; @__hip_cuid_16db98b9bb4fc86a
	.section	.bss,"aw",@nobits
	.globl	__hip_cuid_16db98b9bb4fc86a
__hip_cuid_16db98b9bb4fc86a:
	.byte	0                               ; 0x0
	.size	__hip_cuid_16db98b9bb4fc86a, 1

	.ident	"AMD clang version 19.0.0git (https://github.com/RadeonOpenCompute/llvm-project roc-6.4.0 25133 c7fe45cf4b819c5991fe208aaa96edf142730f1d)"
	.section	".note.GNU-stack","",@progbits
	.addrsig
	.addrsig_sym __hip_cuid_16db98b9bb4fc86a
	.amdgpu_metadata
---
amdhsa.kernels:
  - .args:
      - .actual_access:  read_only
        .address_space:  global
        .offset:         0
        .size:           8
        .value_kind:     global_buffer
      - .actual_access:  read_only
        .address_space:  global
        .offset:         8
        .size:           8
        .value_kind:     global_buffer
      - .actual_access:  read_only
        .address_space:  global
        .offset:         16
        .size:           8
        .value_kind:     global_buffer
      - .actual_access:  read_only
        .address_space:  global
        .offset:         24
        .size:           8
        .value_kind:     global_buffer
      - .actual_access:  read_only
        .address_space:  global
        .offset:         32
        .size:           8
        .value_kind:     global_buffer
      - .offset:         40
        .size:           8
        .value_kind:     by_value
      - .address_space:  global
        .offset:         48
        .size:           8
        .value_kind:     global_buffer
      - .address_space:  global
        .offset:         56
        .size:           8
        .value_kind:     global_buffer
      - .address_space:  global
        .offset:         64
        .size:           8
        .value_kind:     global_buffer
      - .address_space:  global
        .offset:         72
        .size:           8
        .value_kind:     global_buffer
      - .offset:         80
        .size:           4
        .value_kind:     by_value
      - .address_space:  global
        .offset:         88
        .size:           8
        .value_kind:     global_buffer
      - .address_space:  global
        .offset:         96
        .size:           8
        .value_kind:     global_buffer
    .group_segment_fixed_size: 3200
    .kernarg_segment_align: 8
    .kernarg_segment_size: 104
    .language:       OpenCL C
    .language_version:
      - 2
      - 0
    .max_flat_workgroup_size: 160
    .name:           bluestein_single_back_len800_dim1_half_op_CI_CI
    .private_segment_fixed_size: 0
    .sgpr_count:     26
    .sgpr_spill_count: 0
    .symbol:         bluestein_single_back_len800_dim1_half_op_CI_CI.kd
    .uniform_work_group_size: 1
    .uses_dynamic_stack: false
    .vgpr_count:     111
    .vgpr_spill_count: 0
    .wavefront_size: 32
    .workgroup_processor_mode: 1
amdhsa.target:   amdgcn-amd-amdhsa--gfx1030
amdhsa.version:
  - 1
  - 2
...

	.end_amdgpu_metadata
